;; amdgpu-corpus repo=ROCm/rocFFT kind=compiled arch=gfx1030 opt=O3
	.text
	.amdgcn_target "amdgcn-amd-amdhsa--gfx1030"
	.amdhsa_code_object_version 6
	.protected	bluestein_single_back_len1386_dim1_dp_op_CI_CI ; -- Begin function bluestein_single_back_len1386_dim1_dp_op_CI_CI
	.globl	bluestein_single_back_len1386_dim1_dp_op_CI_CI
	.p2align	8
	.type	bluestein_single_back_len1386_dim1_dp_op_CI_CI,@function
bluestein_single_back_len1386_dim1_dp_op_CI_CI: ; @bluestein_single_back_len1386_dim1_dp_op_CI_CI
; %bb.0:
	s_load_dwordx4 s[16:19], s[4:5], 0x28
	v_mul_u32_u24_e32 v1, 0x11c, v0
	s_mov_b64 s[42:43], s[2:3]
	s_mov_b64 s[40:41], s[0:1]
	v_mov_b32_e32 v5, 0
	s_add_u32 s40, s40, s7
	v_lshrrev_b32_e32 v1, 16, v1
	s_addc_u32 s41, s41, 0
	s_mov_b32 s0, exec_lo
	v_add_nc_u32_e32 v4, s6, v1
	s_waitcnt lgkmcnt(0)
	v_cmpx_gt_u64_e64 s[16:17], v[4:5]
	s_cbranch_execz .LBB0_18
; %bb.1:
	s_clause 0x1
	s_load_dwordx4 s[0:3], s[4:5], 0x18
	s_load_dwordx4 s[12:15], s[4:5], 0x0
	v_mul_lo_u16 v1, 0xe7, v1
	v_mov_b32_e32 v5, v4
	v_sub_nc_u16 v72, v0, v1
	v_and_b32_e32 v164, 0xffff, v72
	v_lshlrev_b32_e32 v255, 4, v164
	s_waitcnt lgkmcnt(0)
	s_load_dwordx4 s[8:11], s[0:1], 0x0
	buffer_store_dword v5, off, s[40:43], 0 offset:16 ; 4-byte Folded Spill
	buffer_store_dword v6, off, s[40:43], 0 offset:20 ; 4-byte Folded Spill
	global_load_dwordx4 v[48:51], v255, s[12:13]
	s_waitcnt lgkmcnt(0)
	v_mad_u64_u32 v[0:1], null, s10, v4, 0
	v_mad_u64_u32 v[2:3], null, s8, v164, 0
	s_mul_i32 s0, s9, 0x2b50
	s_mul_hi_u32 s1, s8, 0x2b50
	s_mul_i32 s6, s8, 0x2b50
	s_add_i32 s1, s1, s0
	v_add_co_u32 v10, s0, s12, v255
	v_mad_u64_u32 v[4:5], null, s11, v4, v[1:2]
	v_add_co_ci_u32_e64 v11, null, s13, 0, s0
	s_mul_i32 s0, s9, 0xffffe320
	s_sub_i32 s0, s0, s8
	v_mad_u64_u32 v[5:6], null, s9, v164, v[3:4]
	v_mov_b32_e32 v1, v4
	v_lshlrev_b64 v[0:1], 4, v[0:1]
	v_mov_b32_e32 v3, v5
	v_add_co_u32 v0, vcc_lo, s18, v0
	v_lshlrev_b64 v[2:3], 4, v[2:3]
	v_add_co_ci_u32_e32 v1, vcc_lo, s19, v1, vcc_lo
	v_add_co_u32 v0, vcc_lo, v0, v2
	v_add_co_ci_u32_e32 v1, vcc_lo, v1, v3, vcc_lo
	v_add_co_u32 v4, vcc_lo, v0, s6
	;; [unrolled: 2-line block ×3, first 2 shown]
	v_add_co_ci_u32_e32 v3, vcc_lo, 0, v11, vcc_lo
	v_mad_u64_u32 v[8:9], null, 0xffffe320, s8, v[4:5]
	v_add_co_u32 v6, vcc_lo, 0x800, v10
	v_add_co_ci_u32_e32 v7, vcc_lo, 0, v11, vcc_lo
	v_add_co_u32 v16, vcc_lo, 0x3800, v10
	v_add_nc_u32_e32 v9, s0, v9
	v_add_co_ci_u32_e32 v17, vcc_lo, 0, v11, vcc_lo
	v_add_co_u32 v12, vcc_lo, v8, s6
	v_add_co_ci_u32_e32 v13, vcc_lo, s1, v9, vcc_lo
	v_add_co_u32 v18, vcc_lo, 0x1800, v10
	v_add_co_ci_u32_e32 v19, vcc_lo, 0, v11, vcc_lo
	v_mad_u64_u32 v[20:21], null, 0xffffe320, s8, v[12:13]
	v_add_co_u32 v22, vcc_lo, 0x4800, v10
	v_add_co_ci_u32_e32 v23, vcc_lo, 0, v11, vcc_lo
	s_clause 0x1
	global_load_dwordx4 v[56:59], v[2:3], off offset:848
	global_load_dwordx4 v[52:55], v[6:7], off offset:1648
	s_clause 0x3
	global_load_dwordx4 v[0:3], v[0:1], off
	global_load_dwordx4 v[4:7], v[4:5], off
	;; [unrolled: 1-line block ×4, first 2 shown]
	v_add_nc_u32_e32 v21, s0, v21
	v_add_co_u32 v24, vcc_lo, v20, s6
	v_add_co_u32 v76, s0, 0xe7, v164
	v_add_co_ci_u32_e32 v25, vcc_lo, s1, v21, vcc_lo
	s_clause 0x1
	global_load_dwordx4 v[64:67], v[16:17], off offset:448
	global_load_dwordx4 v[60:63], v[18:19], off offset:1248
	global_load_dwordx4 v[16:19], v[20:21], off
	global_load_dwordx4 v[68:71], v[22:23], off offset:48
	global_load_dwordx4 v[20:23], v[24:25], off
	v_cmp_gt_u16_e32 vcc_lo, 0xc6, v72
                                        ; implicit-def: $vgpr72_vgpr73
	s_waitcnt vmcnt(8)
	v_mul_f64 v[24:25], v[2:3], v[50:51]
	s_waitcnt vmcnt(7)
	v_mul_f64 v[28:29], v[6:7], v[58:59]
	;; [unrolled: 2-line block ×3, first 2 shown]
	v_mul_f64 v[26:27], v[0:1], v[50:51]
	v_mul_f64 v[30:31], v[4:5], v[58:59]
	;; [unrolled: 1-line block ×3, first 2 shown]
	s_waitcnt vmcnt(4)
	v_mul_f64 v[36:37], v[14:15], v[66:67]
	v_mul_f64 v[38:39], v[12:13], v[66:67]
	s_waitcnt vmcnt(2)
	v_mul_f64 v[40:41], v[18:19], v[62:63]
	v_mul_f64 v[42:43], v[16:17], v[62:63]
	;; [unrolled: 3-line block ×3, first 2 shown]
	v_fma_f64 v[0:1], v[0:1], v[48:49], v[24:25]
	buffer_store_dword v48, off, s[40:43], 0 ; 4-byte Folded Spill
	buffer_store_dword v49, off, s[40:43], 0 offset:4 ; 4-byte Folded Spill
	buffer_store_dword v50, off, s[40:43], 0 offset:8 ; 4-byte Folded Spill
	buffer_store_dword v51, off, s[40:43], 0 offset:12 ; 4-byte Folded Spill
	v_fma_f64 v[4:5], v[4:5], v[56:57], v[28:29]
	buffer_store_dword v56, off, s[40:43], 0 offset:40 ; 4-byte Folded Spill
	buffer_store_dword v57, off, s[40:43], 0 offset:44 ; 4-byte Folded Spill
	buffer_store_dword v58, off, s[40:43], 0 offset:48 ; 4-byte Folded Spill
	buffer_store_dword v59, off, s[40:43], 0 offset:52 ; 4-byte Folded Spill
	v_fma_f64 v[8:9], v[8:9], v[52:53], v[32:33]
	buffer_store_dword v52, off, s[40:43], 0 offset:24 ; 4-byte Folded Spill
	;; [unrolled: 5-line block ×5, first 2 shown]
	buffer_store_dword v69, off, s[40:43], 0 offset:92 ; 4-byte Folded Spill
	buffer_store_dword v70, off, s[40:43], 0 offset:96 ; 4-byte Folded Spill
	buffer_store_dword v71, off, s[40:43], 0 offset:100 ; 4-byte Folded Spill
	s_load_dwordx4 s[8:11], s[2:3], 0x0
	s_load_dwordx2 s[2:3], s[4:5], 0x38
	v_fma_f64 v[2:3], v[2:3], v[48:49], -v[26:27]
	v_fma_f64 v[6:7], v[6:7], v[56:57], -v[30:31]
	;; [unrolled: 1-line block ×6, first 2 shown]
	ds_write_b128 v255, v[0:3]
	ds_write_b128 v255, v[4:7] offset:11088
	ds_write_b128 v255, v[8:11] offset:3696
	;; [unrolled: 1-line block ×5, first 2 shown]
	s_waitcnt lgkmcnt(0)
	s_waitcnt_vscnt null, 0x0
	s_barrier
	buffer_gl0_inv
	ds_read_b128 v[0:3], v255 offset:11088
	ds_read_b128 v[4:7], v255
	ds_read_b128 v[8:11], v255 offset:3696
	ds_read_b128 v[12:15], v255 offset:14784
	;; [unrolled: 1-line block ×4, first 2 shown]
	s_waitcnt lgkmcnt(0)
	s_barrier
	buffer_gl0_inv
	v_add_f64 v[52:53], v[4:5], -v[0:1]
	v_add_f64 v[54:55], v[6:7], -v[2:3]
	;; [unrolled: 1-line block ×6, first 2 shown]
	v_add_co_ci_u32_e64 v0, null, 0, 0, s0
	v_lshlrev_b32_e32 v1, 5, v164
	v_lshlrev_b32_e32 v0, 5, v76
	v_fma_f64 v[48:49], v[4:5], 2.0, -v[52:53]
	v_fma_f64 v[50:51], v[6:7], 2.0, -v[54:55]
	;; [unrolled: 1-line block ×6, first 2 shown]
	ds_write_b128 v1, v[52:55] offset:16
	ds_write_b128 v1, v[48:51]
	ds_write_b128 v0, v[60:63]
	buffer_store_dword v0, off, s[40:43], 0 offset:112 ; 4-byte Folded Spill
	ds_write_b128 v0, v[56:59] offset:16
	ds_write_b128 v1, v[64:67] offset:14784
	;; [unrolled: 1-line block ×3, first 2 shown]
	s_waitcnt lgkmcnt(0)
	s_waitcnt_vscnt null, 0x0
	s_barrier
	buffer_gl0_inv
	s_and_saveexec_b32 s0, vcc_lo
	s_cbranch_execz .LBB0_3
; %bb.2:
	ds_read_b128 v[48:51], v255
	ds_read_b128 v[52:55], v255 offset:3168
	ds_read_b128 v[60:63], v255 offset:6336
	;; [unrolled: 1-line block ×6, first 2 shown]
.LBB0_3:
	s_or_b32 exec_lo, exec_lo, s0
	v_and_b32_e32 v0, 1, v164
	s_mov_b32 s0, 0x37e14327
	s_mov_b32 s4, 0xb247c609
	;; [unrolled: 1-line block ×4, first 2 shown]
	v_mul_u32_u24_e32 v0, 6, v0
	s_mov_b32 s6, 0xaaaaaaaa
	s_mov_b32 s7, 0xbff2aaaa
	v_lshlrev_b32_e32 v0, 4, v0
	s_clause 0x5
	global_load_dwordx4 v[28:31], v0, s[14:15]
	global_load_dwordx4 v[24:27], v0, s[14:15] offset:16
	global_load_dwordx4 v[32:35], v0, s[14:15] offset:80
	global_load_dwordx4 v[44:47], v0, s[14:15] offset:64
	global_load_dwordx4 v[40:43], v0, s[14:15] offset:32
	global_load_dwordx4 v[36:39], v0, s[14:15] offset:48
	s_waitcnt vmcnt(0) lgkmcnt(0)
	s_barrier
	buffer_gl0_inv
	v_mul_f64 v[0:1], v[54:55], v[30:31]
	v_mul_f64 v[2:3], v[52:53], v[30:31]
	;; [unrolled: 1-line block ×12, first 2 shown]
	v_fma_f64 v[52:53], v[52:53], v[28:29], -v[0:1]
	v_fma_f64 v[2:3], v[54:55], v[28:29], v[2:3]
	v_fma_f64 v[54:55], v[60:61], v[24:25], -v[4:5]
	v_fma_f64 v[60:61], v[62:63], v[24:25], v[6:7]
	;; [unrolled: 2-line block ×6, first 2 shown]
	v_add_f64 v[0:1], v[52:53], v[8:9]
	v_add_f64 v[6:7], v[2:3], v[62:63]
	;; [unrolled: 1-line block ×4, first 2 shown]
	v_add_f64 v[12:13], v[52:53], -v[8:9]
	v_add_f64 v[2:3], v[2:3], -v[62:63]
	v_add_f64 v[52:53], v[16:17], v[20:21]
	v_add_f64 v[58:59], v[18:19], v[22:23]
	v_add_f64 v[16:17], v[20:21], -v[16:17]
	v_add_f64 v[18:19], v[22:23], -v[18:19]
	v_add_f64 v[20:21], v[54:55], -v[68:69]
	v_add_f64 v[8:9], v[60:61], -v[14:15]
	v_add_f64 v[22:23], v[4:5], v[0:1]
	v_add_f64 v[56:57], v[10:11], v[6:7]
	v_add_f64 v[14:15], v[0:1], -v[52:53]
	v_add_f64 v[54:55], v[6:7], -v[58:59]
	;; [unrolled: 6-line block ×3, first 2 shown]
	v_add_f64 v[22:23], v[52:53], v[22:23]
	v_add_f64 v[77:78], v[58:59], v[56:57]
	v_add_f64 v[56:57], v[52:53], -v[4:5]
	v_add_f64 v[58:59], v[58:59], -v[10:11]
	v_mul_f64 v[52:53], v[14:15], s[0:1]
	v_mul_f64 v[54:55], v[54:55], s[0:1]
	;; [unrolled: 1-line block ×4, first 2 shown]
	s_mov_b32 s0, 0x36b3c0b5
	s_mov_b32 s4, 0xe976ee23
	;; [unrolled: 1-line block ×4, first 2 shown]
	v_add_f64 v[72:73], v[72:73], v[12:13]
	v_add_f64 v[74:75], v[74:75], v[2:3]
	v_add_f64 v[48:49], v[48:49], v[22:23]
	v_add_f64 v[50:51], v[50:51], v[77:78]
	v_fma_f64 v[16:17], v[56:57], s[0:1], v[52:53]
	v_fma_f64 v[79:80], v[58:59], s[0:1], v[54:55]
	;; [unrolled: 1-line block ×6, first 2 shown]
	s_mov_b32 s6, 0x37c3f68c
	s_mov_b32 s7, 0x3fdc38aa
	v_fma_f64 v[18:19], v[72:73], s[6:7], v[14:15]
	v_fma_f64 v[14:15], v[74:75], s[6:7], v[81:82]
	v_add_f64 v[16:17], v[16:17], v[60:61]
	v_add_f64 v[22:23], v[79:80], v[66:67]
	v_add_f64 v[96:97], v[16:17], -v[14:15]
	v_add_f64 v[98:99], v[18:19], v[22:23]
	s_and_saveexec_b32 s16, vcc_lo
	s_cbranch_execz .LBB0_5
; %bb.4:
	v_add_f64 v[12:13], v[20:21], -v[12:13]
	v_add_f64 v[6:7], v[10:11], -v[6:7]
	;; [unrolled: 1-line block ×4, first 2 shown]
	v_mul_f64 v[4:5], v[58:59], s[0:1]
	v_mul_f64 v[8:9], v[64:65], s[4:5]
	;; [unrolled: 1-line block ×4, first 2 shown]
	s_mov_b32 s1, 0xbfebfeb5
	s_mov_b32 s0, 0x429ad128
	;; [unrolled: 1-line block ×4, first 2 shown]
	v_mul_f64 v[56:57], v[72:73], s[6:7]
	v_mul_f64 v[58:59], v[74:75], s[6:7]
	v_fma_f64 v[62:63], v[12:13], s[0:1], -v[70:71]
	v_fma_f64 v[54:55], v[6:7], s[4:5], -v[54:55]
	;; [unrolled: 1-line block ×4, first 2 shown]
	s_mov_b32 s5, 0x3fe77f67
	s_mov_b32 s1, 0x3febfeb5
	v_fma_f64 v[4:5], v[6:7], s[4:5], -v[4:5]
	v_fma_f64 v[6:7], v[12:13], s[0:1], -v[8:9]
	;; [unrolled: 1-line block ×4, first 2 shown]
	v_add_f64 v[8:9], v[56:57], v[62:63]
	v_add_f64 v[10:11], v[54:55], v[66:67]
	;; [unrolled: 1-line block ×8, first 2 shown]
	v_add_f64 v[2:3], v[22:23], -v[18:19]
	v_add_f64 v[0:1], v[14:15], v[16:17]
	v_add_f64 v[6:7], v[8:9], v[10:11]
	v_add_f64 v[10:11], v[10:11], -v[8:9]
	v_add_f64 v[4:5], v[12:13], -v[20:21]
	v_add_f64 v[8:9], v[20:21], v[12:13]
	v_lshrrev_b32_e32 v20, 1, v164
	v_and_b32_e32 v21, 1, v164
	v_add_f64 v[18:19], v[54:55], v[52:53]
	v_add_f64 v[14:15], v[52:53], -v[54:55]
	v_add_f64 v[16:17], v[56:57], -v[58:59]
	v_add_f64 v[12:13], v[58:59], v[56:57]
	v_mul_u32_u24_e32 v20, 14, v20
	v_or_b32_e32 v20, v20, v21
	v_lshlrev_b32_e32 v20, 4, v20
	ds_write_b128 v20, v[48:51]
	ds_write_b128 v20, v[0:3] offset:32
	ds_write_b128 v20, v[8:11] offset:64
	;; [unrolled: 1-line block ×6, first 2 shown]
.LBB0_5:
	s_or_b32 exec_lo, exec_lo, s16
	v_lshrrev_b16 v0, 1, v164
	v_lshrrev_b16 v1, 1, v76
	v_mov_b32_e32 v2, 0x4925
	s_waitcnt lgkmcnt(0)
	s_barrier
	v_and_b32_e32 v0, 0x7f, v0
	buffer_gl0_inv
	v_mul_u32_u24_sdwa v1, v1, v2 dst_sel:DWORD dst_unused:UNUSED_PAD src0_sel:WORD_0 src1_sel:DWORD
	s_mov_b32 s5, 0xbfebb67a
                                        ; implicit-def: $vgpr112_vgpr113
                                        ; implicit-def: $vgpr116_vgpr117
                                        ; implicit-def: $vgpr120_vgpr121
	v_mul_lo_u16 v2, 0x93, v0
	v_lshrrev_b32_e32 v23, 17, v1
	v_lshrrev_b16 v108, 10, v2
	v_mul_lo_u16 v1, v23, 14
	v_mul_lo_u16 v2, v108, 14
	v_sub_nc_u16 v109, v76, v1
	v_sub_nc_u16 v1, v164, v2
	v_lshlrev_b16 v2, 5, v109
	v_and_b32_e32 v110, 0xff, v1
	v_and_b32_e32 v1, 0xffff, v2
	v_lshlrev_b32_e32 v3, 5, v110
	v_add_co_u32 v1, s0, s14, v1
	v_add_co_ci_u32_e64 v2, null, s15, 0, s0
	s_clause 0x3
	global_load_dwordx4 v[56:59], v3, s[14:15] offset:192
	global_load_dwordx4 v[52:55], v3, s[14:15] offset:208
	global_load_dwordx4 v[64:67], v[1:2], off offset:192
	global_load_dwordx4 v[60:63], v[1:2], off offset:208
	ds_read_b128 v[1:4], v255 offset:7392
	ds_read_b128 v[5:8], v255 offset:14784
	;; [unrolled: 1-line block ×4, first 2 shown]
	s_mov_b32 s0, 0xe8584caa
	s_mov_b32 s1, 0x3febb67a
	;; [unrolled: 1-line block ×3, first 2 shown]
	s_waitcnt vmcnt(3) lgkmcnt(3)
	v_mul_f64 v[17:18], v[3:4], v[58:59]
	s_waitcnt vmcnt(2) lgkmcnt(2)
	v_mul_f64 v[19:20], v[7:8], v[54:55]
	v_mul_f64 v[21:22], v[1:2], v[58:59]
	;; [unrolled: 1-line block ×3, first 2 shown]
	s_waitcnt vmcnt(1) lgkmcnt(1)
	v_mul_f64 v[50:51], v[11:12], v[66:67]
	s_waitcnt vmcnt(0) lgkmcnt(0)
	v_mul_f64 v[68:69], v[15:16], v[62:63]
	v_mul_f64 v[70:71], v[9:10], v[66:67]
	;; [unrolled: 1-line block ×3, first 2 shown]
	v_fma_f64 v[17:18], v[1:2], v[56:57], -v[17:18]
	v_fma_f64 v[19:20], v[5:6], v[52:53], -v[19:20]
	v_fma_f64 v[21:22], v[3:4], v[56:57], v[21:22]
	v_fma_f64 v[48:49], v[7:8], v[52:53], v[48:49]
	v_fma_f64 v[9:10], v[9:10], v[64:65], -v[50:51]
	v_fma_f64 v[13:14], v[13:14], v[60:61], -v[68:69]
	v_fma_f64 v[11:12], v[11:12], v[64:65], v[70:71]
	v_fma_f64 v[15:16], v[15:16], v[60:61], v[72:73]
	ds_read_b128 v[1:4], v255
	ds_read_b128 v[5:8], v255 offset:3696
	s_waitcnt lgkmcnt(0)
	s_barrier
	buffer_gl0_inv
	v_add_f64 v[50:51], v[17:18], v[19:20]
	v_add_f64 v[68:69], v[21:22], v[48:49]
	v_add_f64 v[76:77], v[21:22], -v[48:49]
	v_add_f64 v[70:71], v[9:10], v[13:14]
	v_add_f64 v[74:75], v[1:2], v[17:18]
	;; [unrolled: 1-line block ×6, first 2 shown]
	v_add_f64 v[17:18], v[17:18], -v[19:20]
	v_add_f64 v[11:12], v[11:12], -v[15:16]
	;; [unrolled: 1-line block ×3, first 2 shown]
	v_fma_f64 v[1:2], v[50:51], -0.5, v[1:2]
	v_fma_f64 v[3:4], v[68:69], -0.5, v[3:4]
	;; [unrolled: 1-line block ×3, first 2 shown]
	v_add_f64 v[104:105], v[74:75], v[19:20]
	v_fma_f64 v[7:8], v[72:73], -0.5, v[7:8]
	v_add_f64 v[106:107], v[21:22], v[48:49]
	v_add_f64 v[88:89], v[78:79], v[13:14]
	;; [unrolled: 1-line block ×3, first 2 shown]
	v_fma_f64 v[80:81], v[76:77], s[0:1], v[1:2]
	v_fma_f64 v[84:85], v[76:77], s[4:5], v[1:2]
	;; [unrolled: 1-line block ×8, first 2 shown]
	v_mov_b32_e32 v1, 42
	v_mov_b32_e32 v3, 4
	v_mad_u16 v5, v23, 42, v109
	v_cmp_gt_u16_e64 s0, 0x7e, v164
	v_mul_u32_u24_sdwa v4, v108, v1 dst_sel:DWORD dst_unused:UNUSED_PAD src0_sel:WORD_0 src1_sel:DWORD
                                        ; implicit-def: $vgpr108_vgpr109
	v_lshlrev_b32_sdwa v1, v3, v5 dst_sel:DWORD dst_unused:UNUSED_PAD src0_sel:DWORD src1_sel:WORD_0
	v_add_lshl_u32 v2, v4, v110, 4
	ds_write_b128 v2, v[104:107]
	ds_write_b128 v2, v[80:83] offset:224
	buffer_store_dword v2, off, s[40:43], 0 offset:120 ; 4-byte Folded Spill
	ds_write_b128 v2, v[84:87] offset:448
	ds_write_b128 v1, v[88:91]
	ds_write_b128 v1, v[92:95] offset:224
	buffer_store_dword v1, off, s[40:43], 0 offset:116 ; 4-byte Folded Spill
	ds_write_b128 v1, v[100:103] offset:448
	s_waitcnt lgkmcnt(0)
	s_waitcnt_vscnt null, 0x0
	s_barrier
	buffer_gl0_inv
	s_and_saveexec_b32 s1, s0
	s_cbranch_execz .LBB0_7
; %bb.6:
	ds_read_b128 v[104:107], v255
	ds_read_b128 v[80:83], v255 offset:2016
	ds_read_b128 v[84:87], v255 offset:4032
	ds_read_b128 v[88:91], v255 offset:6048
	ds_read_b128 v[92:95], v255 offset:8064
	ds_read_b128 v[100:103], v255 offset:10080
	ds_read_b128 v[96:99], v255 offset:12096
	ds_read_b128 v[108:111], v255 offset:14112
	ds_read_b128 v[112:115], v255 offset:16128
	ds_read_b128 v[116:119], v255 offset:18144
	ds_read_b128 v[120:123], v255 offset:20160
.LBB0_7:
	s_or_b32 exec_lo, exec_lo, s1
	v_mul_lo_u16 v0, v0, 49
	s_mov_b32 s23, 0xbfed1bb4
	s_mov_b32 s22, 0x8eee2c13
	;; [unrolled: 1-line block ×4, first 2 shown]
	v_lshrrev_b16 v0, 10, v0
	s_mov_b32 s4, 0x8764f0ba
	s_mov_b32 s5, 0x3feaeb8c
	;; [unrolled: 1-line block ×4, first 2 shown]
	buffer_store_dword v0, off, s[40:43], 0 offset:104 ; 4-byte Folded Spill
	v_mul_lo_u16 v0, v0, 42
	s_mov_b32 s24, 0x43842ef
	s_mov_b32 s25, 0xbfefac9e
	;; [unrolled: 1-line block ×4, first 2 shown]
	v_sub_nc_u16 v0, v164, v0
	s_mov_b32 s28, 0xbb3a28a1
	s_mov_b32 s29, 0xbfe82f19
	;; [unrolled: 1-line block ×4, first 2 shown]
	v_and_b32_e32 v0, 0xff, v0
	s_mov_b32 s30, 0xfd768dbf
	s_mov_b32 s31, 0xbfd207e7
	;; [unrolled: 1-line block ×4, first 2 shown]
	buffer_store_dword v0, off, s[40:43], 0 offset:108 ; 4-byte Folded Spill
	v_mad_u64_u32 v[0:1], null, 0xa0, v0, s[14:15]
	s_mov_b32 s35, 0x3fd207e7
	s_mov_b32 s34, s30
	;; [unrolled: 1-line block ×4, first 2 shown]
	s_clause 0x3
	global_load_dwordx4 v[48:51], v[0:1], off offset:640
	global_load_dwordx4 v[72:75], v[0:1], off offset:784
	global_load_dwordx4 v[68:71], v[0:1], off offset:656
	global_load_dwordx4 v[76:79], v[0:1], off offset:768
	s_mov_b32 s39, 0x3fe14ced
	s_mov_b32 s38, s26
	s_waitcnt vmcnt(3) lgkmcnt(9)
	v_mul_f64 v[2:3], v[80:81], v[50:51]
	v_mul_f64 v[4:5], v[82:83], v[50:51]
	s_waitcnt vmcnt(1) lgkmcnt(8)
	v_mul_f64 v[10:11], v[84:85], v[70:71]
	s_waitcnt lgkmcnt(0)
	v_mul_f64 v[8:9], v[122:123], v[74:75]
	v_mul_f64 v[6:7], v[120:121], v[74:75]
	v_fma_f64 v[169:170], v[82:83], v[48:49], v[2:3]
	v_fma_f64 v[167:168], v[80:81], v[48:49], -v[4:5]
	global_load_dwordx4 v[80:83], v[0:1], off offset:672
	v_mul_f64 v[2:3], v[86:87], v[70:71]
	v_fma_f64 v[146:147], v[86:87], v[68:69], v[10:11]
	s_waitcnt vmcnt(1)
	v_mul_f64 v[4:5], v[116:117], v[78:79]
	v_fma_f64 v[183:184], v[120:121], v[72:73], -v[8:9]
	v_fma_f64 v[12:13], v[122:123], v[72:73], v[6:7]
	v_fma_f64 v[144:145], v[84:85], v[68:69], -v[2:3]
	global_load_dwordx4 v[84:87], v[0:1], off offset:688
	v_mul_f64 v[2:3], v[118:119], v[78:79]
	v_fma_f64 v[8:9], v[118:119], v[76:77], v[4:5]
	v_add_f64 v[6:7], v[169:170], -v[12:13]
	v_add_f64 v[215:216], v[167:168], v[183:184]
	v_add_f64 v[14:15], v[167:168], -v[183:184]
	v_fma_f64 v[4:5], v[116:117], v[76:77], -v[2:3]
	v_add_f64 v[10:11], v[146:147], -v[8:9]
	v_mul_f64 v[221:222], v[6:7], s[26:27]
	v_mul_f64 v[225:226], v[14:15], s[26:27]
	;; [unrolled: 1-line block ×3, first 2 shown]
	v_add_f64 v[171:172], v[144:145], v[4:5]
	v_mul_f64 v[211:212], v[10:11], s[28:29]
	v_mul_f64 v[237:238], v[10:11], s[34:35]
	;; [unrolled: 1-line block ×3, first 2 shown]
	s_waitcnt vmcnt(1)
	v_mul_f64 v[2:3], v[90:91], v[82:83]
	v_fma_f64 v[150:151], v[88:89], v[80:81], -v[2:3]
	v_mul_f64 v[2:3], v[88:89], v[82:83]
	v_fma_f64 v[154:155], v[90:91], v[80:81], v[2:3]
	s_waitcnt vmcnt(0)
	v_mul_f64 v[2:3], v[94:95], v[86:87]
	v_fma_f64 v[152:153], v[92:93], v[84:85], -v[2:3]
	v_mul_f64 v[2:3], v[92:93], v[86:87]
	v_fma_f64 v[156:157], v[94:95], v[84:85], v[2:3]
	s_clause 0x1
	global_load_dwordx4 v[88:91], v[0:1], off offset:704
	global_load_dwordx4 v[92:95], v[0:1], off offset:720
	s_waitcnt vmcnt(1)
	v_mul_f64 v[2:3], v[102:103], v[90:91]
	v_fma_f64 v[158:159], v[100:101], v[88:89], -v[2:3]
	v_mul_f64 v[2:3], v[100:101], v[90:91]
	v_fma_f64 v[162:163], v[102:103], v[88:89], v[2:3]
	s_waitcnt vmcnt(0)
	v_mul_f64 v[2:3], v[98:99], v[94:95]
	v_fma_f64 v[160:161], v[96:97], v[92:93], -v[2:3]
	v_mul_f64 v[2:3], v[96:97], v[94:95]
	v_add_f64 v[187:188], v[158:159], v[160:161]
	v_fma_f64 v[165:166], v[98:99], v[92:93], v[2:3]
	v_mul_f64 v[2:3], v[10:11], s[22:23]
	s_clause 0x1
	global_load_dwordx4 v[96:99], v[0:1], off offset:752
	global_load_dwordx4 v[100:103], v[0:1], off offset:736
	v_add_f64 v[181:182], v[158:159], -v[160:161]
	buffer_store_dword v2, off, s[40:43], 0 offset:148 ; 4-byte Folded Spill
	buffer_store_dword v3, off, s[40:43], 0 offset:152 ; 4-byte Folded Spill
	;; [unrolled: 1-line block ×8, first 2 shown]
	v_add_f64 v[177:178], v[162:163], -v[165:166]
	v_add_f64 v[195:196], v[162:163], v[165:166]
	v_mul_f64 v[193:194], v[181:182], s[30:31]
	v_mul_f64 v[203:204], v[181:182], s[38:39]
	;; [unrolled: 1-line block ×5, first 2 shown]
	s_waitcnt vmcnt(1)
	v_mul_f64 v[0:1], v[112:113], v[98:99]
	v_fma_f64 v[2:3], v[171:172], s[6:7], v[2:3]
	v_fma_f64 v[148:149], v[114:115], v[96:97], v[0:1]
	v_add_f64 v[16:17], v[144:145], -v[4:5]
	v_mul_f64 v[0:1], v[114:115], v[98:99]
	v_add_f64 v[229:230], v[169:170], v[12:13]
	v_add_f64 v[185:186], v[146:147], v[8:9]
	v_add_f64 v[22:23], v[154:155], -v[148:149]
	v_mul_f64 v[4:5], v[16:17], s[22:23]
	v_fma_f64 v[112:113], v[112:113], v[96:97], -v[0:1]
	s_waitcnt vmcnt(0)
	v_mul_f64 v[0:1], v[110:111], v[102:103]
	v_add_f64 v[179:180], v[154:155], v[148:149]
	v_mul_f64 v[219:220], v[16:17], s[28:29]
	v_mul_f64 v[241:242], v[16:17], s[34:35]
	;; [unrolled: 1-line block ×3, first 2 shown]
	buffer_store_dword v4, off, s[40:43], 0 offset:172 ; 4-byte Folded Spill
	buffer_store_dword v5, off, s[40:43], 0 offset:176 ; 4-byte Folded Spill
	v_add_f64 v[175:176], v[150:151], v[112:113]
	v_fma_f64 v[114:115], v[108:109], v[100:101], -v[0:1]
	v_mul_f64 v[0:1], v[108:109], v[102:103]
	v_add_f64 v[136:137], v[150:151], -v[112:113]
	v_fma_f64 v[12:13], v[185:186], s[16:17], -v[219:220]
	v_mul_f64 v[209:210], v[22:23], s[34:35]
	v_fma_f64 v[20:21], v[185:186], s[18:19], -v[241:242]
	v_mul_f64 v[249:250], v[22:23], s[26:27]
	v_add_f64 v[191:192], v[152:153], v[114:115]
	v_fma_f64 v[108:109], v[110:111], v[100:101], v[0:1]
	v_fma_f64 v[0:1], v[215:216], s[4:5], v[221:222]
	v_add_f64 v[173:174], v[152:153], -v[114:115]
	v_mul_f64 v[213:214], v[136:137], s[34:35]
	v_mul_f64 v[251:252], v[136:137], s[26:27]
	;; [unrolled: 1-line block ×3, first 2 shown]
	v_add_f64 v[138:139], v[156:157], -v[108:109]
	v_add_f64 v[0:1], v[104:105], v[0:1]
	v_add_f64 v[199:200], v[156:157], v[108:109]
	v_mul_f64 v[197:198], v[173:174], s[28:29]
	v_mul_f64 v[207:208], v[173:174], s[36:37]
	;; [unrolled: 1-line block ×5, first 2 shown]
	v_add_f64 v[0:1], v[2:3], v[0:1]
	v_fma_f64 v[2:3], v[229:230], s[4:5], -v[225:226]
	v_mul_f64 v[205:206], v[138:139], s[36:37]
	v_mul_f64 v[227:228], v[138:139], s[26:27]
	;; [unrolled: 1-line block ×3, first 2 shown]
	v_add_f64 v[2:3], v[106:107], v[2:3]
	v_fma_f64 v[4:5], v[185:186], s[6:7], -v[4:5]
	v_add_f64 v[2:3], v[4:5], v[2:3]
	v_mul_f64 v[4:5], v[22:23], s[24:25]
	buffer_store_dword v4, off, s[40:43], 0 offset:156 ; 4-byte Folded Spill
	buffer_store_dword v5, off, s[40:43], 0 offset:160 ; 4-byte Folded Spill
	v_fma_f64 v[4:5], v[175:176], s[20:21], v[4:5]
	v_add_f64 v[0:1], v[4:5], v[0:1]
	v_mul_f64 v[4:5], v[136:137], s[24:25]
	buffer_store_dword v4, off, s[40:43], 0 offset:164 ; 4-byte Folded Spill
	buffer_store_dword v5, off, s[40:43], 0 offset:168 ; 4-byte Folded Spill
	v_fma_f64 v[4:5], v[179:180], s[20:21], -v[4:5]
	v_add_f64 v[2:3], v[4:5], v[2:3]
	v_fma_f64 v[4:5], v[191:192], s[16:17], v[189:190]
	v_add_f64 v[0:1], v[4:5], v[0:1]
	v_fma_f64 v[4:5], v[199:200], s[16:17], -v[197:198]
	v_add_f64 v[2:3], v[4:5], v[2:3]
	v_mul_f64 v[4:5], v[177:178], s[30:31]
	buffer_store_dword v4, off, s[40:43], 0 offset:180 ; 4-byte Folded Spill
	buffer_store_dword v5, off, s[40:43], 0 offset:184 ; 4-byte Folded Spill
	s_waitcnt_vscnt null, 0x0
	s_barrier
	buffer_gl0_inv
	v_fma_f64 v[4:5], v[187:188], s[18:19], v[4:5]
	v_add_f64 v[120:121], v[4:5], v[0:1]
	v_fma_f64 v[0:1], v[195:196], s[18:19], -v[193:194]
	v_fma_f64 v[4:5], v[171:172], s[16:17], v[211:212]
	v_add_f64 v[122:123], v[0:1], v[2:3]
	v_mul_f64 v[2:3], v[6:7], s[22:23]
	v_fma_f64 v[0:1], v[215:216], s[6:7], v[2:3]
	v_add_f64 v[0:1], v[104:105], v[0:1]
	v_add_f64 v[0:1], v[4:5], v[0:1]
	v_mul_f64 v[4:5], v[14:15], s[22:23]
	s_mov_b32 s23, 0x3fed1bb4
	v_mul_f64 v[233:234], v[22:23], s[22:23]
	v_mul_f64 v[235:236], v[136:137], s[22:23]
	v_mul_f64 v[239:240], v[177:178], s[22:23]
	v_mul_f64 v[243:244], v[181:182], s[22:23]
	v_mul_f64 v[22:23], v[22:23], s[28:29]
	v_fma_f64 v[8:9], v[229:230], s[6:7], -v[4:5]
	v_add_f64 v[8:9], v[106:107], v[8:9]
	v_add_f64 v[8:9], v[12:13], v[8:9]
	v_fma_f64 v[12:13], v[175:176], s[18:19], v[209:210]
	v_add_f64 v[0:1], v[12:13], v[0:1]
	v_fma_f64 v[12:13], v[179:180], s[18:19], -v[213:214]
	v_add_f64 v[8:9], v[12:13], v[8:9]
	v_fma_f64 v[12:13], v[191:192], s[20:21], v[205:206]
	v_add_f64 v[0:1], v[12:13], v[0:1]
	v_fma_f64 v[12:13], v[199:200], s[20:21], -v[207:208]
	;; [unrolled: 4-line block ×3, first 2 shown]
	v_fma_f64 v[12:13], v[171:172], s[18:19], v[237:238]
	v_add_f64 v[126:127], v[0:1], v[8:9]
	v_mul_f64 v[8:9], v[6:7], s[24:25]
	v_fma_f64 v[0:1], v[215:216], s[20:21], v[8:9]
	v_add_f64 v[0:1], v[104:105], v[0:1]
	v_add_f64 v[0:1], v[12:13], v[0:1]
	v_mul_f64 v[12:13], v[14:15], s[24:25]
	v_fma_f64 v[18:19], v[229:230], s[20:21], -v[12:13]
	v_add_f64 v[18:19], v[106:107], v[18:19]
	v_add_f64 v[18:19], v[20:21], v[18:19]
	v_fma_f64 v[20:21], v[175:176], s[6:7], v[233:234]
	v_add_f64 v[0:1], v[20:21], v[0:1]
	v_fma_f64 v[20:21], v[179:180], s[6:7], -v[235:236]
	v_add_f64 v[18:19], v[20:21], v[18:19]
	v_fma_f64 v[20:21], v[191:192], s[4:5], v[227:228]
	v_add_f64 v[0:1], v[20:21], v[0:1]
	v_fma_f64 v[20:21], v[199:200], s[4:5], -v[231:232]
	;; [unrolled: 4-line block ×3, first 2 shown]
	v_fma_f64 v[20:21], v[171:172], s[20:21], v[253:254]
	v_add_f64 v[130:131], v[0:1], v[18:19]
	v_mul_f64 v[18:19], v[6:7], s[28:29]
	v_fma_f64 v[0:1], v[215:216], s[16:17], v[18:19]
	v_add_f64 v[0:1], v[104:105], v[0:1]
	v_add_f64 v[20:21], v[20:21], v[0:1]
	v_fma_f64 v[0:1], v[229:230], s[16:17], -v[116:117]
	v_add_f64 v[110:111], v[106:107], v[0:1]
	v_mul_f64 v[0:1], v[16:17], s[36:37]
	v_fma_f64 v[118:119], v[185:186], s[20:21], -v[0:1]
	v_add_f64 v[110:111], v[118:119], v[110:111]
	v_fma_f64 v[118:119], v[175:176], s[4:5], v[249:250]
	v_add_f64 v[20:21], v[118:119], v[20:21]
	v_fma_f64 v[118:119], v[179:180], s[4:5], -v[251:252]
	v_add_f64 v[110:111], v[118:119], v[110:111]
	v_fma_f64 v[118:119], v[191:192], s[18:19], v[245:246]
	v_add_f64 v[20:21], v[118:119], v[20:21]
	;; [unrolled: 4-line block ×3, first 2 shown]
	v_fma_f64 v[20:21], v[195:196], s[6:7], -v[243:244]
	v_mul_f64 v[118:119], v[6:7], s[30:31]
	v_add_f64 v[134:135], v[20:21], v[110:111]
	v_mul_f64 v[20:21], v[10:11], s[38:39]
	v_fma_f64 v[6:7], v[215:216], s[18:19], v[118:119]
	v_mul_f64 v[110:111], v[14:15], s[30:31]
	v_fma_f64 v[14:15], v[185:186], s[4:5], -v[140:141]
	v_fma_f64 v[10:11], v[171:172], s[4:5], v[20:21]
	v_add_f64 v[6:7], v[104:105], v[6:7]
	v_add_f64 v[6:7], v[10:11], v[6:7]
	v_fma_f64 v[10:11], v[229:230], s[18:19], -v[110:111]
	v_add_f64 v[10:11], v[106:107], v[10:11]
	v_add_f64 v[10:11], v[14:15], v[10:11]
	v_fma_f64 v[14:15], v[175:176], s[16:17], v[22:23]
	v_add_f64 v[6:7], v[14:15], v[6:7]
	v_fma_f64 v[14:15], v[179:180], s[16:17], -v[142:143]
	v_add_f64 v[10:11], v[14:15], v[10:11]
	v_mul_f64 v[14:15], v[138:139], s[22:23]
	v_fma_f64 v[16:17], v[191:192], s[6:7], v[14:15]
	v_add_f64 v[136:137], v[16:17], v[6:7]
	v_mul_f64 v[16:17], v[173:174], s[22:23]
	v_fma_f64 v[6:7], v[199:200], s[6:7], -v[16:17]
	v_add_f64 v[138:139], v[6:7], v[10:11]
	v_mul_f64 v[6:7], v[177:178], s[24:25]
	v_mul_f64 v[10:11], v[181:182], s[24:25]
	v_fma_f64 v[173:174], v[187:188], s[20:21], v[6:7]
	v_add_f64 v[136:137], v[173:174], v[136:137]
	v_fma_f64 v[173:174], v[195:196], s[20:21], -v[10:11]
	v_add_f64 v[138:139], v[173:174], v[138:139]
	v_lshlrev_b32_e32 v173, 5, v164
	v_add_nc_u32_e32 v178, 0x39c0, v173
	s_and_saveexec_b32 s1, s0
	s_cbranch_execz .LBB0_9
; %bb.8:
	v_mul_f64 v[181:182], v[215:216], s[6:7]
	v_mul_f64 v[173:174], v[229:230], s[18:19]
	buffer_store_dword v183, off, s[40:43], 0 offset:188 ; 4-byte Folded Spill
	buffer_store_dword v184, off, s[40:43], 0 offset:192 ; 4-byte Folded Spill
	v_mov_b32_e32 v183, v164
	v_mov_b32_e32 v164, v178
	v_mul_f64 v[177:178], v[215:216], s[4:5]
	v_add_f64 v[169:170], v[106:107], v[169:170]
	v_add_f64 v[167:168], v[104:105], v[167:168]
	v_add_f64 v[2:3], v[181:182], -v[2:3]
	v_mul_f64 v[181:182], v[215:216], s[20:21]
	v_add_f64 v[110:111], v[110:111], v[173:174]
	v_mul_f64 v[173:174], v[215:216], s[18:19]
	v_add_f64 v[177:178], v[177:178], -v[221:222]
	v_mul_f64 v[221:222], v[175:176], s[6:7]
	v_add_f64 v[144:145], v[167:168], v[144:145]
	v_mul_f64 v[167:168], v[185:186], s[18:19]
	v_add_f64 v[2:3], v[104:105], v[2:3]
	v_add_f64 v[8:9], v[181:182], -v[8:9]
	v_mul_f64 v[181:182], v[215:216], s[16:17]
	v_add_f64 v[118:119], v[173:174], -v[118:119]
	v_mul_f64 v[173:174], v[229:230], s[16:17]
	v_add_f64 v[110:111], v[106:107], v[110:111]
	v_mul_f64 v[215:216], v[175:176], s[4:5]
	v_add_f64 v[144:145], v[144:145], v[150:151]
	v_mul_f64 v[150:151], v[195:196], s[6:7]
	v_add_f64 v[221:222], v[221:222], -v[233:234]
	v_mul_f64 v[233:234], v[199:200], s[4:5]
	v_add_f64 v[167:168], v[241:242], v[167:168]
	v_add_f64 v[8:9], v[104:105], v[8:9]
	v_add_f64 v[18:19], v[181:182], -v[18:19]
	v_mul_f64 v[181:182], v[171:172], s[16:17]
	v_add_f64 v[116:117], v[116:117], v[173:174]
	v_mul_f64 v[173:174], v[229:230], s[20:21]
	v_add_f64 v[118:119], v[104:105], v[118:119]
	v_add_f64 v[144:145], v[144:145], v[152:153]
	;; [unrolled: 1-line block ×3, first 2 shown]
	v_add_f64 v[215:216], v[215:216], -v[249:250]
	v_add_f64 v[231:232], v[231:232], v[233:234]
	v_mul_f64 v[233:234], v[191:192], s[4:5]
	v_mul_f64 v[152:153], v[187:188], s[6:7]
	v_add_f64 v[18:19], v[104:105], v[18:19]
	v_add_f64 v[181:182], v[181:182], -v[211:212]
	s_clause 0x1
	buffer_load_dword v211, off, s[40:43], 0 offset:172
	buffer_load_dword v212, off, s[40:43], 0 offset:176
	v_add_f64 v[12:13], v[12:13], v[173:174]
	v_mul_f64 v[173:174], v[229:230], s[6:7]
	v_add_f64 v[116:117], v[106:107], v[116:117]
	v_add_f64 v[144:145], v[144:145], v[158:159]
	v_mul_f64 v[158:159], v[195:196], s[4:5]
	v_add_f64 v[227:228], v[233:234], -v[227:228]
	v_mul_f64 v[233:234], v[199:200], s[20:21]
	v_add_f64 v[152:153], v[152:153], -v[239:240]
	v_add_f64 v[2:3], v[181:182], v[2:3]
	v_add_f64 v[12:13], v[106:107], v[12:13]
	;; [unrolled: 1-line block ×3, first 2 shown]
	v_mul_f64 v[173:174], v[229:230], s[4:5]
	v_add_f64 v[144:145], v[144:145], v[160:161]
	v_mul_f64 v[229:230], v[191:192], s[18:19]
	v_mul_f64 v[160:161], v[187:188], s[4:5]
	v_add_f64 v[158:159], v[203:204], v[158:159]
	v_add_f64 v[207:208], v[207:208], v[233:234]
	v_mul_f64 v[233:234], v[191:192], s[20:21]
	v_add_f64 v[12:13], v[167:168], v[12:13]
	v_add_f64 v[4:5], v[106:107], v[4:5]
	;; [unrolled: 1-line block ×3, first 2 shown]
	v_mul_f64 v[225:226], v[179:180], s[18:19]
	v_add_f64 v[114:115], v[144:145], v[114:115]
	v_add_f64 v[229:230], v[229:230], -v[245:246]
	v_add_f64 v[160:161], v[160:161], -v[201:202]
	;; [unrolled: 1-line block ×3, first 2 shown]
	v_add_f64 v[106:107], v[106:107], v[173:174]
	v_add_f64 v[173:174], v[104:105], v[177:178]
	v_mul_f64 v[104:105], v[185:186], s[4:5]
	v_mul_f64 v[177:178], v[185:186], s[16:17]
	v_add_f64 v[213:214], v[213:214], v[225:226]
	v_mul_f64 v[225:226], v[175:176], s[18:19]
	v_add_f64 v[104:105], v[140:141], v[104:105]
	;; [unrolled: 2-line block ×3, first 2 shown]
	v_add_f64 v[209:210], v[225:226], -v[209:210]
	v_mul_f64 v[219:220], v[179:180], s[6:7]
	v_add_f64 v[104:105], v[104:105], v[110:111]
	v_add_f64 v[20:21], v[140:141], -v[20:21]
	v_mul_f64 v[140:141], v[179:180], s[16:17]
	v_add_f64 v[2:3], v[209:210], v[2:3]
	v_add_f64 v[219:220], v[235:236], v[219:220]
	;; [unrolled: 1-line block ×3, first 2 shown]
	v_mov_b32_e32 v178, v164
	v_mov_b32_e32 v164, v183
	v_add_f64 v[20:21], v[20:21], v[118:119]
	v_add_f64 v[140:141], v[142:143], v[140:141]
	v_mul_f64 v[142:143], v[175:176], s[16:17]
	v_mul_f64 v[175:176], v[175:176], s[20:21]
	v_add_f64 v[12:13], v[219:220], v[12:13]
	v_add_f64 v[4:5], v[213:214], v[4:5]
	v_mov_b32_e32 v118, 0x1ce
	v_add_f64 v[104:105], v[140:141], v[104:105]
	v_add_f64 v[22:23], v[142:143], -v[22:23]
	v_mul_f64 v[142:143], v[199:200], s[6:7]
	v_add_f64 v[12:13], v[231:232], v[12:13]
	v_add_f64 v[4:5], v[207:208], v[4:5]
	;; [unrolled: 1-line block ×4, first 2 shown]
	v_mul_f64 v[142:143], v[191:192], s[6:7]
	v_mul_f64 v[191:192], v[191:192], s[16:17]
	v_add_f64 v[16:17], v[16:17], v[104:105]
	v_add_f64 v[14:15], v[142:143], -v[14:15]
	v_mul_f64 v[142:143], v[195:196], s[20:21]
	v_add_f64 v[189:190], v[191:192], -v[189:190]
	v_add_f64 v[14:15], v[14:15], v[20:21]
	v_add_f64 v[10:11], v[10:11], v[142:143]
	v_mul_f64 v[142:143], v[187:188], s[20:21]
	v_add_f64 v[6:7], v[142:143], -v[6:7]
	v_add_f64 v[142:143], v[169:170], v[146:147]
	v_mul_f64 v[146:147], v[185:186], s[20:21]
	v_mul_f64 v[185:186], v[185:186], s[6:7]
	v_mul_f64 v[169:170], v[171:172], s[18:19]
	v_add_f64 v[142:143], v[142:143], v[154:155]
	v_add_f64 v[0:1], v[0:1], v[146:147]
	v_mul_f64 v[146:147], v[171:172], s[20:21]
	v_mul_f64 v[171:172], v[171:172], s[6:7]
	v_add_f64 v[169:170], v[169:170], -v[237:238]
	v_mul_f64 v[154:155], v[195:196], s[16:17]
	v_add_f64 v[142:143], v[142:143], v[156:157]
	v_add_f64 v[0:1], v[0:1], v[116:117]
	v_add_f64 v[146:147], v[146:147], -v[253:254]
	v_mul_f64 v[116:117], v[195:196], s[18:19]
	v_add_f64 v[8:9], v[169:170], v[8:9]
	v_mul_f64 v[156:157], v[187:188], s[16:17]
	v_add_f64 v[154:155], v[223:224], v[154:155]
	s_waitcnt vmcnt(0)
	v_add_f64 v[185:186], v[211:212], v[185:186]
	s_clause 0x3
	buffer_load_dword v211, off, s[40:43], 0 offset:148
	buffer_load_dword v212, off, s[40:43], 0 offset:152
	;; [unrolled: 1-line block ×4, first 2 shown]
	v_add_f64 v[142:143], v[142:143], v[162:163]
	v_add_f64 v[18:19], v[146:147], v[18:19]
	;; [unrolled: 1-line block ×4, first 2 shown]
	v_add_f64 v[156:157], v[156:157], -v[217:218]
	v_add_f64 v[106:107], v[185:186], v[106:107]
	v_add_f64 v[142:143], v[142:143], v[165:166]
	;; [unrolled: 1-line block ×7, first 2 shown]
	s_waitcnt vmcnt(2)
	v_add_f64 v[171:172], v[171:172], -v[211:212]
	v_mul_f64 v[211:212], v[179:180], s[4:5]
	v_mul_f64 v[179:180], v[179:180], s[20:21]
	v_add_f64 v[110:111], v[171:172], v[173:174]
	v_add_f64 v[211:212], v[251:252], v[211:212]
	s_waitcnt vmcnt(0)
	v_add_f64 v[179:180], v[225:226], v[179:180]
	s_clause 0x1
	buffer_load_dword v225, off, s[40:43], 0 offset:156
	buffer_load_dword v226, off, s[40:43], 0 offset:160
	v_add_f64 v[0:1], v[211:212], v[0:1]
	v_add_f64 v[22:23], v[179:180], v[106:107]
	s_waitcnt vmcnt(0)
	v_add_f64 v[175:176], v[175:176], -v[225:226]
	v_mul_f64 v[225:226], v[199:200], s[18:19]
	v_mul_f64 v[199:200], v[199:200], s[16:17]
	v_add_f64 v[106:107], v[175:176], v[110:111]
	v_add_f64 v[225:226], v[247:248], v[225:226]
	;; [unrolled: 1-line block ×3, first 2 shown]
	s_clause 0x1
	buffer_load_dword v114, off, s[40:43], 0 offset:180
	buffer_load_dword v115, off, s[40:43], 0 offset:184
	v_add_f64 v[197:198], v[197:198], v[199:200]
	v_mul_f64 v[112:113], v[187:188], s[18:19]
	v_add_f64 v[104:105], v[189:190], v[106:107]
	v_add_f64 v[20:21], v[225:226], v[0:1]
	s_clause 0x1
	buffer_load_dword v0, off, s[40:43], 0 offset:140
	buffer_load_dword v1, off, s[40:43], 0 offset:144
	v_add_f64 v[106:107], v[205:206], v[2:3]
	v_add_f64 v[22:23], v[197:198], v[22:23]
	;; [unrolled: 1-line block ×5, first 2 shown]
	s_waitcnt vmcnt(2)
	v_add_f64 v[112:113], v[112:113], -v[114:115]
	v_add_f64 v[114:115], v[229:230], v[18:19]
	v_add_f64 v[18:19], v[116:117], v[22:23]
	s_waitcnt vmcnt(0)
	v_add_f64 v[108:109], v[108:109], v[0:1]
	s_clause 0x1
	buffer_load_dword v0, off, s[40:43], 0 offset:132
	buffer_load_dword v1, off, s[40:43], 0 offset:136
	v_add_f64 v[16:17], v[112:113], v[104:105]
	s_waitcnt vmcnt(0)
	v_add_f64 v[110:111], v[110:111], v[0:1]
	v_add_f64 v[0:1], v[6:7], v[14:15]
	;; [unrolled: 1-line block ×3, first 2 shown]
	s_clause 0x1
	buffer_load_dword v20, off, s[40:43], 0 offset:124
	buffer_load_dword v21, off, s[40:43], 0 offset:128
	v_add_f64 v[14:15], v[158:159], v[4:5]
	v_add_f64 v[4:5], v[152:153], v[114:115]
	s_waitcnt vmcnt(0)
	v_add_f64 v[22:23], v[108:109], v[20:21]
	s_clause 0x3
	buffer_load_dword v20, off, s[40:43], 0 offset:188
	buffer_load_dword v21, off, s[40:43], 0 offset:192
	;; [unrolled: 1-line block ×4, first 2 shown]
	s_waitcnt vmcnt(2)
	v_add_f64 v[20:21], v[110:111], v[20:21]
	s_waitcnt vmcnt(1)
	v_mul_u32_u24_sdwa v104, v104, v118 dst_sel:DWORD dst_unused:UNUSED_PAD src0_sel:WORD_0 src1_sel:DWORD
	s_waitcnt vmcnt(0)
	v_add_lshl_u32 v104, v104, v105, 4
	ds_write_b128 v104, v[136:139] offset:4032
	ds_write_b128 v104, v[132:135] offset:4704
	;; [unrolled: 1-line block ×9, first 2 shown]
	ds_write_b128 v104, v[20:23]
	ds_write_b128 v104, v[120:123] offset:6720
.LBB0_9:
	s_or_b32 exec_lo, exec_lo, s1
	s_waitcnt lgkmcnt(0)
	s_waitcnt_vscnt null, 0x0
	s_barrier
	buffer_gl0_inv
	buffer_load_dword v177, off, s[40:43], 0 offset:112 ; 4-byte Folded Reload
	v_lshlrev_b32_e32 v0, 1, v164
	v_lshlrev_b32_e32 v160, 4, v164
	s_mov_b32 s4, 0xe8584caa
	s_mov_b32 s5, 0x3febb67a
	s_mov_b32 s7, 0xbfebb67a
	v_lshlrev_b32_e32 v0, 4, v0
	s_mov_b32 s6, s4
	v_add_co_u32 v6, s1, s14, v0
	v_add_co_ci_u32_e64 v7, null, s15, 0, s1
	s_waitcnt vmcnt(0)
	v_add_co_u32 v4, s1, s14, v177
	v_add_co_ci_u32_e64 v5, null, s15, 0, s1
	v_add_co_u32 v0, s1, 0x1800, v6
	v_add_co_ci_u32_e64 v1, s1, 0, v7, s1
	v_add_co_u32 v2, s1, 0x1800, v4
	v_add_co_ci_u32_e64 v3, s1, 0, v5, s1
	;; [unrolled: 2-line block ×3, first 2 shown]
	global_load_dwordx4 v[104:107], v[2:3], off offset:1216
	v_add_co_u32 v2, s1, 0x1cc0, v6
	v_add_co_ci_u32_e64 v3, s1, 0, v7, s1
	s_clause 0x2
	global_load_dwordx4 v[108:111], v[4:5], off offset:16
	global_load_dwordx4 v[112:115], v[0:1], off offset:1216
	;; [unrolled: 1-line block ×3, first 2 shown]
	ds_read_b128 v[0:3], v255 offset:11088
	ds_read_b128 v[4:7], v255 offset:18480
	;; [unrolled: 1-line block ×4, first 2 shown]
	v_add_co_u32 v162, s1, s12, v160
	v_add_co_ci_u32_e64 v163, null, s13, 0, s1
	v_add_co_u32 v160, s1, 0x5000, v162
	v_add_co_ci_u32_e64 v161, s1, 0, v163, s1
	s_waitcnt vmcnt(3) lgkmcnt(3)
	v_mul_f64 v[16:17], v[2:3], v[106:107]
	v_mul_f64 v[18:19], v[0:1], v[106:107]
	s_waitcnt vmcnt(2) lgkmcnt(2)
	v_mul_f64 v[20:21], v[6:7], v[110:111]
	v_mul_f64 v[22:23], v[4:5], v[110:111]
	;; [unrolled: 3-line block ×4, first 2 shown]
	v_fma_f64 v[16:17], v[0:1], v[104:105], -v[16:17]
	v_fma_f64 v[18:19], v[2:3], v[104:105], v[18:19]
	v_fma_f64 v[20:21], v[4:5], v[108:109], -v[20:21]
	v_fma_f64 v[22:23], v[6:7], v[108:109], v[22:23]
	;; [unrolled: 2-line block ×4, first 2 shown]
	ds_read_b128 v[0:3], v255 offset:3696
	ds_read_b128 v[4:7], v255
	v_add_f64 v[140:141], v[16:17], v[20:21]
	v_add_f64 v[142:143], v[18:19], v[22:23]
	v_add_f64 v[150:151], v[18:19], -v[22:23]
	s_waitcnt lgkmcnt(1)
	v_add_f64 v[148:149], v[0:1], v[16:17]
	v_add_f64 v[144:145], v[8:9], v[12:13]
	;; [unrolled: 1-line block ×4, first 2 shown]
	s_waitcnt lgkmcnt(0)
	v_add_f64 v[152:153], v[4:5], v[8:9]
	v_add_f64 v[154:155], v[6:7], v[10:11]
	v_add_f64 v[16:17], v[16:17], -v[20:21]
	v_add_f64 v[156:157], v[10:11], -v[14:15]
	;; [unrolled: 1-line block ×3, first 2 shown]
	v_fma_f64 v[140:141], v[140:141], -0.5, v[0:1]
	v_fma_f64 v[142:143], v[142:143], -0.5, v[2:3]
	v_add_f64 v[0:1], v[148:149], v[20:21]
	v_fma_f64 v[144:145], v[144:145], -0.5, v[4:5]
	v_fma_f64 v[146:147], v[146:147], -0.5, v[6:7]
	v_add_f64 v[2:3], v[18:19], v[22:23]
	v_add_f64 v[4:5], v[152:153], v[12:13]
	;; [unrolled: 1-line block ×3, first 2 shown]
	v_fma_f64 v[8:9], v[150:151], s[4:5], v[140:141]
	v_fma_f64 v[10:11], v[16:17], s[6:7], v[142:143]
	;; [unrolled: 1-line block ×8, first 2 shown]
	v_add_co_u32 v140, s1, 0x8000, v162
	v_add_co_ci_u32_e64 v141, s1, 0, v163, s1
	v_add_co_u32 v142, s1, 0x6000, v162
	v_add_co_ci_u32_e64 v143, s1, 0, v163, s1
	;; [unrolled: 2-line block ×4, first 2 shown]
	ds_write_b128 v255, v[0:3] offset:3696
	ds_write_b128 v255, v[4:7]
	ds_write_b128 v255, v[8:11] offset:11088
	ds_write_b128 v255, v[12:15] offset:18480
	;; [unrolled: 1-line block ×4, first 2 shown]
	v_add_co_u32 v20, s1, 0x9800, v162
	s_waitcnt lgkmcnt(0)
	s_barrier
	buffer_gl0_inv
	s_clause 0x2
	global_load_dwordx4 v[0:3], v[160:161], off offset:1696
	global_load_dwordx4 v[4:7], v[140:141], off offset:496
	;; [unrolled: 1-line block ×3, first 2 shown]
	v_add_co_ci_u32_e64 v21, s1, 0, v163, s1
	s_clause 0x2
	global_load_dwordx4 v[12:15], v[144:145], off offset:96
	global_load_dwordx4 v[16:19], v[146:147], off offset:896
	;; [unrolled: 1-line block ×3, first 2 shown]
	ds_read_b128 v[140:143], v255
	ds_read_b128 v[144:147], v255 offset:11088
	ds_read_b128 v[148:151], v255 offset:3696
	;; [unrolled: 1-line block ×5, first 2 shown]
	s_waitcnt vmcnt(5) lgkmcnt(5)
	v_mul_f64 v[165:166], v[142:143], v[2:3]
	v_mul_f64 v[2:3], v[140:141], v[2:3]
	s_waitcnt vmcnt(4) lgkmcnt(4)
	v_mul_f64 v[167:168], v[146:147], v[6:7]
	v_mul_f64 v[6:7], v[144:145], v[6:7]
	;; [unrolled: 3-line block ×6, first 2 shown]
	v_fma_f64 v[140:141], v[140:141], v[0:1], -v[165:166]
	v_fma_f64 v[142:143], v[142:143], v[0:1], v[2:3]
	v_fma_f64 v[0:1], v[144:145], v[4:5], -v[167:168]
	v_fma_f64 v[2:3], v[146:147], v[4:5], v[6:7]
	;; [unrolled: 2-line block ×6, first 2 shown]
	ds_write_b128 v255, v[140:143]
	ds_write_b128 v255, v[0:3] offset:11088
	ds_write_b128 v255, v[4:7] offset:3696
	;; [unrolled: 1-line block ×5, first 2 shown]
	s_waitcnt lgkmcnt(0)
	s_barrier
	buffer_gl0_inv
	ds_read_b128 v[0:3], v255 offset:11088
	ds_read_b128 v[4:7], v255
	ds_read_b128 v[8:11], v255 offset:3696
	ds_read_b128 v[12:15], v255 offset:14784
	;; [unrolled: 1-line block ×4, first 2 shown]
	s_waitcnt lgkmcnt(0)
	s_barrier
	buffer_gl0_inv
	v_add_f64 v[144:145], v[4:5], -v[0:1]
	v_add_f64 v[146:147], v[6:7], -v[2:3]
	;; [unrolled: 1-line block ×6, first 2 shown]
	v_lshlrev_b32_e32 v0, 5, v164
	v_fma_f64 v[140:141], v[4:5], 2.0, -v[144:145]
	v_fma_f64 v[142:143], v[6:7], 2.0, -v[146:147]
	;; [unrolled: 1-line block ×6, first 2 shown]
	ds_write_b128 v0, v[144:147] offset:16
	ds_write_b128 v0, v[140:143]
	ds_write_b128 v177, v[152:155]
	ds_write_b128 v177, v[148:151] offset:16
	ds_write_b128 v178, v[156:159]
	ds_write_b128 v178, v[160:163] offset:16
	s_waitcnt lgkmcnt(0)
	s_barrier
	buffer_gl0_inv
	s_and_saveexec_b32 s1, vcc_lo
	s_cbranch_execz .LBB0_11
; %bb.10:
	ds_read_b128 v[140:143], v255
	ds_read_b128 v[144:147], v255 offset:3168
	ds_read_b128 v[152:155], v255 offset:6336
	;; [unrolled: 1-line block ×6, first 2 shown]
.LBB0_11:
	s_or_b32 exec_lo, exec_lo, s1
	s_waitcnt lgkmcnt(5)
	v_mul_f64 v[0:1], v[30:31], v[146:147]
	v_mul_f64 v[2:3], v[30:31], v[144:145]
	s_waitcnt lgkmcnt(4)
	v_mul_f64 v[4:5], v[26:27], v[154:155]
	v_mul_f64 v[6:7], v[26:27], v[152:153]
	;; [unrolled: 3-line block ×3, first 2 shown]
	v_mul_f64 v[12:13], v[46:47], v[162:163]
	v_mul_f64 v[14:15], v[46:47], v[160:161]
	;; [unrolled: 1-line block ×6, first 2 shown]
	s_mov_b32 s4, 0x37e14327
	s_mov_b32 s6, 0xb247c609
	;; [unrolled: 1-line block ×6, first 2 shown]
	s_barrier
	buffer_gl0_inv
	v_fma_f64 v[26:27], v[28:29], v[144:145], v[0:1]
	v_fma_f64 v[2:3], v[28:29], v[146:147], -v[2:3]
	v_fma_f64 v[28:29], v[24:25], v[152:153], v[4:5]
	v_fma_f64 v[24:25], v[24:25], v[154:155], -v[6:7]
	;; [unrolled: 2-line block ×6, first 2 shown]
	v_add_f64 v[0:1], v[26:27], v[8:9]
	v_add_f64 v[6:7], v[2:3], v[30:31]
	;; [unrolled: 1-line block ×4, first 2 shown]
	v_add_f64 v[12:13], v[26:27], -v[8:9]
	v_add_f64 v[2:3], v[2:3], -v[30:31]
	v_add_f64 v[26:27], v[16:17], v[20:21]
	v_add_f64 v[30:31], v[18:19], v[22:23]
	v_add_f64 v[16:17], v[20:21], -v[16:17]
	v_add_f64 v[18:19], v[22:23], -v[18:19]
	;; [unrolled: 1-line block ×4, first 2 shown]
	v_add_f64 v[22:23], v[4:5], v[0:1]
	v_add_f64 v[34:35], v[10:11], v[6:7]
	v_add_f64 v[14:15], v[0:1], -v[26:27]
	v_add_f64 v[24:25], v[6:7], -v[30:31]
	;; [unrolled: 1-line block ×6, first 2 shown]
	v_add_f64 v[144:145], v[18:19], v[8:9]
	v_add_f64 v[44:45], v[16:17], -v[20:21]
	v_add_f64 v[42:43], v[18:19], -v[8:9]
	v_add_f64 v[22:23], v[26:27], v[22:23]
	v_add_f64 v[46:47], v[30:31], v[34:35]
	v_add_f64 v[30:31], v[16:17], v[20:21]
	v_mul_f64 v[32:33], v[14:15], s[4:5]
	v_mul_f64 v[34:35], v[24:25], s[4:5]
	;; [unrolled: 1-line block ×4, first 2 shown]
	s_mov_b32 s4, 0x36b3c0b5
	s_mov_b32 s6, 0xe976ee23
	;; [unrolled: 1-line block ×4, first 2 shown]
	v_add_f64 v[24:25], v[140:141], v[22:23]
	v_add_f64 v[26:27], v[142:143], v[46:47]
	;; [unrolled: 1-line block ×4, first 2 shown]
	v_fma_f64 v[16:17], v[36:37], s[4:5], v[32:33]
	v_fma_f64 v[28:29], v[38:39], s[4:5], v[34:35]
	;; [unrolled: 1-line block ×6, first 2 shown]
	s_mov_b32 s12, 0x37c3f68c
	s_mov_b32 s13, 0xbfdc38aa
	v_fma_f64 v[18:19], v[140:141], s[12:13], v[14:15]
	v_fma_f64 v[14:15], v[142:143], s[12:13], v[30:31]
	v_add_f64 v[16:17], v[16:17], v[40:41]
	v_add_f64 v[22:23], v[28:29], v[46:47]
	v_add_f64 v[28:29], v[16:17], -v[14:15]
	v_add_f64 v[30:31], v[18:19], v[22:23]
	s_and_saveexec_b32 s1, vcc_lo
	s_cbranch_execz .LBB0_13
; %bb.12:
	v_add_f64 v[12:13], v[20:21], -v[12:13]
	v_add_f64 v[6:7], v[10:11], -v[6:7]
	;; [unrolled: 1-line block ×4, first 2 shown]
	v_mul_f64 v[4:5], v[38:39], s[4:5]
	v_mul_f64 v[8:9], v[44:45], s[6:7]
	;; [unrolled: 1-line block ×4, first 2 shown]
	s_mov_b32 s5, 0x3febfeb5
	s_mov_b32 s4, 0x429ad128
	;; [unrolled: 1-line block ×4, first 2 shown]
	v_mul_f64 v[36:37], v[140:141], s[12:13]
	v_mul_f64 v[38:39], v[142:143], s[12:13]
	v_fma_f64 v[42:43], v[12:13], s[4:5], -v[138:139]
	v_fma_f64 v[34:35], v[6:7], s[6:7], -v[34:35]
	;; [unrolled: 1-line block ×4, first 2 shown]
	s_mov_b32 s7, 0x3fe77f67
	s_mov_b32 s5, 0xbfebfeb5
	v_fma_f64 v[4:5], v[6:7], s[6:7], -v[4:5]
	v_fma_f64 v[6:7], v[12:13], s[4:5], -v[8:9]
	;; [unrolled: 1-line block ×4, first 2 shown]
	v_add_f64 v[8:9], v[36:37], v[42:43]
	v_add_f64 v[10:11], v[34:35], v[46:47]
	;; [unrolled: 1-line block ×8, first 2 shown]
	v_add_f64 v[2:3], v[22:23], -v[18:19]
	v_add_f64 v[0:1], v[14:15], v[16:17]
	v_add_f64 v[6:7], v[8:9], v[10:11]
	v_add_f64 v[10:11], v[10:11], -v[8:9]
	v_add_f64 v[4:5], v[12:13], -v[20:21]
	v_add_f64 v[8:9], v[20:21], v[12:13]
	v_lshrrev_b32_e32 v20, 1, v164
	v_and_b32_e32 v21, 1, v164
	v_add_f64 v[18:19], v[34:35], v[32:33]
	v_add_f64 v[14:15], v[32:33], -v[34:35]
	v_add_f64 v[16:17], v[36:37], -v[38:39]
	v_add_f64 v[12:13], v[38:39], v[36:37]
	v_mul_u32_u24_e32 v20, 14, v20
	v_or_b32_e32 v20, v20, v21
	v_lshlrev_b32_e32 v20, 4, v20
	ds_write_b128 v20, v[24:27]
	ds_write_b128 v20, v[0:3] offset:32
	ds_write_b128 v20, v[8:11] offset:64
	;; [unrolled: 1-line block ×6, first 2 shown]
.LBB0_13:
	s_or_b32 exec_lo, exec_lo, s1
	s_waitcnt lgkmcnt(0)
	s_barrier
	buffer_gl0_inv
	ds_read_b128 v[0:3], v255 offset:7392
	ds_read_b128 v[4:7], v255 offset:14784
	;; [unrolled: 1-line block ×4, first 2 shown]
	s_mov_b32 s4, 0xe8584caa
	s_mov_b32 s5, 0xbfebb67a
	;; [unrolled: 1-line block ×4, first 2 shown]
	s_waitcnt lgkmcnt(3)
	v_mul_f64 v[16:17], v[58:59], v[2:3]
	s_waitcnt lgkmcnt(2)
	v_mul_f64 v[18:19], v[54:55], v[6:7]
	v_mul_f64 v[20:21], v[58:59], v[0:1]
	;; [unrolled: 1-line block ×3, first 2 shown]
	s_waitcnt lgkmcnt(1)
	v_mul_f64 v[24:25], v[66:67], v[10:11]
	s_waitcnt lgkmcnt(0)
	v_mul_f64 v[26:27], v[62:63], v[14:15]
	v_mul_f64 v[32:33], v[66:67], v[8:9]
	v_mul_f64 v[34:35], v[62:63], v[12:13]
	v_fma_f64 v[16:17], v[56:57], v[0:1], v[16:17]
	v_fma_f64 v[18:19], v[52:53], v[4:5], v[18:19]
	v_fma_f64 v[20:21], v[56:57], v[2:3], -v[20:21]
	v_fma_f64 v[22:23], v[52:53], v[6:7], -v[22:23]
	v_fma_f64 v[8:9], v[64:65], v[8:9], v[24:25]
	v_fma_f64 v[12:13], v[60:61], v[12:13], v[26:27]
	ds_read_b128 v[0:3], v255
	ds_read_b128 v[4:7], v255 offset:3696
	v_fma_f64 v[10:11], v[64:65], v[10:11], -v[32:33]
	s_waitcnt lgkmcnt(0)
	s_barrier
	buffer_gl0_inv
	v_fma_f64 v[14:15], v[60:61], v[14:15], -v[34:35]
	v_add_f64 v[24:25], v[16:17], v[18:19]
	v_add_f64 v[36:37], v[0:1], v[16:17]
	v_add_f64 v[38:39], v[20:21], -v[22:23]
	v_add_f64 v[32:33], v[8:9], v[12:13]
	v_add_f64 v[40:41], v[4:5], v[8:9]
	;; [unrolled: 1-line block ×4, first 2 shown]
	v_add_f64 v[16:17], v[16:17], -v[18:19]
	v_add_f64 v[42:43], v[6:7], v[10:11]
	v_add_f64 v[34:35], v[10:11], v[14:15]
	v_add_f64 v[10:11], v[10:11], -v[14:15]
	v_add_f64 v[8:9], v[8:9], -v[12:13]
	v_fma_f64 v[0:1], v[24:25], -0.5, v[0:1]
	v_add_f64 v[24:25], v[36:37], v[18:19]
	v_fma_f64 v[4:5], v[32:33], -0.5, v[4:5]
	v_add_f64 v[40:41], v[40:41], v[12:13]
	;; [unrolled: 2-line block ×3, first 2 shown]
	v_add_f64 v[42:43], v[42:43], v[14:15]
	v_fma_f64 v[6:7], v[34:35], -0.5, v[6:7]
	v_fma_f64 v[36:37], v[38:39], s[4:5], v[0:1]
	v_fma_f64 v[32:33], v[38:39], s[6:7], v[0:1]
	buffer_load_dword v0, off, s[40:43], 0 offset:120 ; 4-byte Folded Reload
	v_fma_f64 v[44:45], v[10:11], s[4:5], v[4:5]
	v_fma_f64 v[52:53], v[10:11], s[6:7], v[4:5]
	;; [unrolled: 1-line block ×4, first 2 shown]
	s_waitcnt vmcnt(0)
	ds_write_b128 v0, v[24:27]
	ds_write_b128 v0, v[36:39] offset:224
	ds_write_b128 v0, v[32:35] offset:448
	buffer_load_dword v0, off, s[40:43], 0 offset:116 ; 4-byte Folded Reload
	v_fma_f64 v[46:47], v[8:9], s[6:7], v[6:7]
	v_fma_f64 v[54:55], v[8:9], s[4:5], v[6:7]
	s_waitcnt vmcnt(0)
	ds_write_b128 v0, v[40:43]
	ds_write_b128 v0, v[44:47] offset:224
	ds_write_b128 v0, v[52:55] offset:448
	s_waitcnt lgkmcnt(0)
	s_barrier
	buffer_gl0_inv
	s_and_saveexec_b32 s1, s0
	s_cbranch_execz .LBB0_15
; %bb.14:
	ds_read_b128 v[24:27], v255
	ds_read_b128 v[36:39], v255 offset:2016
	ds_read_b128 v[32:35], v255 offset:4032
	;; [unrolled: 1-line block ×10, first 2 shown]
.LBB0_15:
	s_or_b32 exec_lo, exec_lo, s1
	s_waitcnt lgkmcnt(0)
	s_barrier
	buffer_gl0_inv
	s_and_saveexec_b32 s33, s0
	s_cbranch_execz .LBB0_17
; %bb.16:
	v_mul_f64 v[0:1], v[50:51], v[38:39]
	v_mul_f64 v[2:3], v[74:75], v[122:123]
	;; [unrolled: 1-line block ×18, first 2 shown]
	s_mov_b32 s22, 0xfd768dbf
	s_mov_b32 s23, 0xbfd207e7
	v_mul_f64 v[64:65], v[98:99], v[128:129]
	s_mov_b32 s18, 0xbb3a28a1
	v_fma_f64 v[0:1], v[48:49], v[36:37], v[0:1]
	v_fma_f64 v[36:37], v[72:73], v[120:121], v[2:3]
	v_mul_f64 v[2:3], v[82:83], v[42:43]
	v_fma_f64 v[52:53], v[88:89], v[52:53], v[4:5]
	v_fma_f64 v[50:51], v[92:93], v[28:29], v[6:7]
	;; [unrolled: 1-line block ×4, first 2 shown]
	v_fma_f64 v[6:7], v[48:49], v[38:39], -v[56:57]
	v_fma_f64 v[28:29], v[72:73], v[122:123], -v[58:59]
	;; [unrolled: 1-line block ×3, first 2 shown]
	v_fma_f64 v[12:13], v[84:85], v[44:45], v[12:13]
	v_fma_f64 v[44:45], v[100:101], v[132:133], v[14:15]
	v_fma_f64 v[14:15], v[84:85], v[46:47], -v[16:17]
	v_fma_f64 v[46:47], v[100:101], v[134:135], -v[18:19]
	v_fma_f64 v[38:39], v[96:97], v[128:129], v[60:61]
	v_fma_f64 v[16:17], v[80:81], v[42:43], -v[62:63]
	v_fma_f64 v[18:19], v[68:69], v[34:35], -v[66:67]
	;; [unrolled: 1-line block ×3, first 2 shown]
	s_mov_b32 s14, 0xf8bb580b
	s_mov_b32 s6, 0x9bcd5057
	s_mov_b32 s19, 0xbfe82f19
	s_mov_b32 s15, 0x3fe14ced
	s_mov_b32 s7, 0xbfeeb42a
	v_add_f64 v[10:11], v[0:1], -v[36:37]
	v_fma_f64 v[2:3], v[80:81], v[40:41], v[2:3]
	v_fma_f64 v[8:9], v[88:89], v[54:55], -v[8:9]
	v_fma_f64 v[40:41], v[96:97], v[130:131], -v[64:65]
	v_add_f64 v[78:79], v[0:1], v[36:37]
	v_add_f64 v[20:21], v[4:5], -v[32:33]
	s_mov_b32 s16, 0x43842ef
	v_add_f64 v[22:23], v[6:7], -v[28:29]
	v_add_f64 v[34:35], v[6:7], v[28:29]
	s_mov_b32 s4, 0x7f775887
	s_mov_b32 s12, 0x8764f0ba
	;; [unrolled: 1-line block ×7, first 2 shown]
	v_add_f64 v[66:67], v[18:19], -v[30:31]
	v_add_f64 v[74:75], v[18:19], v[30:31]
	v_add_f64 v[56:57], v[12:13], -v[44:45]
	v_add_f64 v[90:91], v[4:5], v[32:33]
	s_mov_b32 s0, 0x640f44db
	s_mov_b32 s1, 0xbfc2375f
	v_mul_f64 v[42:43], v[10:11], s[22:23]
	v_add_f64 v[58:59], v[2:3], -v[38:39]
	v_mul_f64 v[100:101], v[10:11], s[18:19]
	v_add_f64 v[64:65], v[16:17], -v[40:41]
	v_add_f64 v[72:73], v[16:17], v[40:41]
	v_mul_f64 v[80:81], v[20:21], s[14:15]
	v_mul_f64 v[132:133], v[20:21], s[26:27]
	;; [unrolled: 1-line block ×6, first 2 shown]
	s_mov_b32 s25, 0x3fed1bb4
	s_mov_b32 s24, 0x8eee2c13
	;; [unrolled: 1-line block ×5, first 2 shown]
	v_mul_f64 v[122:123], v[66:67], s[14:15]
	s_mov_b32 s30, s22
	v_add_f64 v[54:55], v[52:53], -v[50:51]
	v_add_f64 v[62:63], v[14:15], -v[46:47]
	v_add_f64 v[70:71], v[14:15], v[46:47]
	v_add_f64 v[86:87], v[2:3], v[38:39]
	v_fma_f64 v[88:89], v[34:35], s[6:7], v[42:43]
	v_mul_f64 v[96:97], v[58:59], s[18:19]
	v_fma_f64 v[42:43], v[34:35], s[6:7], -v[42:43]
	v_fma_f64 v[154:155], v[34:35], s[4:5], v[100:101]
	v_add_f64 v[6:7], v[26:27], v[6:7]
	v_fma_f64 v[136:137], v[74:75], s[12:13], v[80:81]
	v_add_f64 v[0:1], v[24:25], v[0:1]
	v_fma_f64 v[138:139], v[78:79], s[6:7], -v[82:83]
	v_fma_f64 v[82:83], v[78:79], s[6:7], v[82:83]
	v_mul_f64 v[94:95], v[56:57], s[24:25]
	v_mul_f64 v[120:121], v[64:65], s[18:19]
	;; [unrolled: 1-line block ×6, first 2 shown]
	v_fma_f64 v[169:170], v[78:79], s[4:5], -v[130:131]
	v_fma_f64 v[167:168], v[90:91], s[12:13], -v[122:123]
	;; [unrolled: 1-line block ×3, first 2 shown]
	v_fma_f64 v[122:123], v[90:91], s[12:13], v[122:123]
	v_fma_f64 v[100:101], v[34:35], s[4:5], -v[100:101]
	v_fma_f64 v[130:131], v[78:79], s[4:5], v[130:131]
	v_fma_f64 v[171:172], v[74:75], s[0:1], v[132:133]
	v_add_f64 v[88:89], v[26:27], v[88:89]
	v_fma_f64 v[165:166], v[72:73], s[4:5], v[96:97]
	v_add_f64 v[42:43], v[26:27], v[42:43]
	v_add_f64 v[154:155], v[26:27], v[154:155]
	v_fma_f64 v[177:178], v[78:79], s[0:1], -v[162:163]
	s_mov_b32 s20, 0xd9c712b6
	s_mov_b32 s21, 0x3fda9628
	v_add_f64 v[138:139], v[24:25], v[138:139]
	v_add_f64 v[82:83], v[24:25], v[82:83]
	;; [unrolled: 1-line block ×4, first 2 shown]
	v_mul_f64 v[92:93], v[54:55], s[16:17]
	v_mul_f64 v[102:103], v[62:63], s[24:25]
	;; [unrolled: 1-line block ×5, first 2 shown]
	v_add_f64 v[6:7], v[6:7], v[18:19]
	v_add_f64 v[0:1], v[0:1], v[4:5]
	v_fma_f64 v[18:19], v[70:71], s[20:21], v[94:95]
	v_fma_f64 v[175:176], v[86:87], s[4:5], -v[120:121]
	v_fma_f64 v[96:97], v[72:73], s[4:5], -v[96:97]
	v_fma_f64 v[120:121], v[86:87], s[4:5], v[120:121]
	v_add_f64 v[88:89], v[136:137], v[88:89]
	v_fma_f64 v[136:137], v[34:35], s[0:1], v[150:151]
	v_fma_f64 v[179:180], v[90:91], s[0:1], -v[144:145]
	v_fma_f64 v[132:133], v[74:75], s[0:1], -v[132:133]
	v_fma_f64 v[144:145], v[90:91], s[0:1], v[144:145]
	v_add_f64 v[100:101], v[26:27], v[100:101]
	v_add_f64 v[42:43], v[80:81], v[42:43]
	;; [unrolled: 1-line block ×5, first 2 shown]
	v_fma_f64 v[167:168], v[90:91], s[6:7], -v[160:161]
	v_add_f64 v[171:172], v[24:25], v[177:178]
	v_add_f64 v[60:61], v[8:9], -v[48:49]
	v_mul_f64 v[126:127], v[56:57], s[22:23]
	v_mul_f64 v[140:141], v[62:63], s[22:23]
	;; [unrolled: 1-line block ×4, first 2 shown]
	v_fma_f64 v[4:5], v[68:69], s[0:1], v[92:93]
	v_add_f64 v[169:170], v[24:25], v[169:170]
	v_fma_f64 v[122:123], v[84:85], s[20:21], -v[102:103]
	v_fma_f64 v[94:95], v[70:71], s[20:21], -v[94:95]
	v_fma_f64 v[102:103], v[84:85], s[20:21], v[102:103]
	v_add_f64 v[82:83], v[165:166], v[88:89]
	v_add_f64 v[88:89], v[24:25], v[130:131]
	v_fma_f64 v[130:131], v[74:75], s[6:7], v[152:153]
	v_add_f64 v[136:137], v[26:27], v[136:137]
	v_fma_f64 v[165:166], v[72:73], s[12:13], v[128:129]
	v_fma_f64 v[177:178], v[86:87], s[12:13], -v[142:143]
	v_fma_f64 v[128:129], v[72:73], s[12:13], -v[128:129]
	v_fma_f64 v[142:143], v[86:87], s[12:13], v[142:143]
	v_add_f64 v[100:101], v[132:133], v[100:101]
	v_add_f64 v[132:133], v[175:176], v[138:139]
	;; [unrolled: 1-line block ×4, first 2 shown]
	v_fma_f64 v[120:121], v[78:79], s[0:1], v[162:163]
	v_fma_f64 v[138:139], v[72:73], s[20:21], v[148:149]
	v_add_f64 v[162:163], v[167:168], v[171:172]
	v_add_f64 v[6:7], v[6:7], v[16:17]
	;; [unrolled: 1-line block ×3, first 2 shown]
	v_mul_f64 v[124:125], v[54:55], s[24:25]
	v_mul_f64 v[134:135], v[60:61], s[24:25]
	s_mov_b32 s25, 0xbfed1bb4
	v_add_f64 v[76:77], v[52:53], v[50:51]
	v_add_f64 v[169:170], v[179:180], v[169:170]
	;; [unrolled: 1-line block ×4, first 2 shown]
	v_fma_f64 v[150:151], v[34:35], s[0:1], -v[150:151]
	v_add_f64 v[130:131], v[130:131], v[136:137]
	v_add_f64 v[144:145], v[165:166], v[154:155]
	v_fma_f64 v[154:155], v[86:87], s[20:21], -v[158:159]
	v_fma_f64 v[96:97], v[70:71], s[6:7], v[126:127]
	v_fma_f64 v[136:137], v[84:85], s[6:7], -v[140:141]
	v_fma_f64 v[126:127], v[70:71], s[6:7], -v[126:127]
	v_fma_f64 v[140:141], v[84:85], s[6:7], v[140:141]
	v_add_f64 v[100:101], v[128:129], v[100:101]
	v_add_f64 v[122:123], v[122:123], v[132:133]
	;; [unrolled: 1-line block ×5, first 2 shown]
	v_fma_f64 v[102:103], v[70:71], s[12:13], v[146:147]
	v_mul_f64 v[128:129], v[10:11], s[24:25]
	v_fma_f64 v[132:133], v[84:85], s[12:13], -v[156:157]
	v_mul_f64 v[10:11], v[10:11], s[28:29]
	v_add_f64 v[6:7], v[6:7], v[14:15]
	v_add_f64 v[0:1], v[0:1], v[12:13]
	v_mul_f64 v[14:15], v[22:23], s[24:25]
	v_add_f64 v[2:3], v[4:5], v[18:19]
	v_add_f64 v[4:5], v[142:143], v[82:83]
	v_fma_f64 v[82:83], v[90:91], s[6:7], v[160:161]
	v_add_f64 v[120:121], v[138:139], v[130:131]
	v_fma_f64 v[152:153], v[74:75], s[6:7], -v[152:153]
	v_add_f64 v[138:139], v[154:155], v[162:163]
	v_add_f64 v[16:17], v[177:178], v[169:170]
	;; [unrolled: 1-line block ×4, first 2 shown]
	v_fma_f64 v[142:143], v[76:77], s[20:21], -v[134:135]
	v_mul_f64 v[12:13], v[22:23], s[28:29]
	v_add_f64 v[100:101], v[126:127], v[100:101]
	v_fma_f64 v[126:127], v[76:77], s[20:21], v[134:135]
	v_fma_f64 v[134:135], v[86:87], s[20:21], v[158:159]
	v_mul_f64 v[144:145], v[66:67], s[18:19]
	v_mul_f64 v[66:67], v[66:67], s[24:25]
	;; [unrolled: 1-line block ×3, first 2 shown]
	v_fma_f64 v[92:93], v[68:69], s[0:1], -v[92:93]
	v_fma_f64 v[88:89], v[68:69], s[20:21], v[124:125]
	v_add_f64 v[6:7], v[6:7], v[8:9]
	v_add_f64 v[0:1], v[0:1], v[52:53]
	v_fma_f64 v[52:53], v[78:79], s[20:21], v[14:15]
	v_fma_f64 v[14:15], v[78:79], s[20:21], -v[14:15]
	v_fma_f64 v[22:23], v[68:69], s[20:21], -v[124:125]
	v_add_f64 v[82:83], v[82:83], v[94:95]
	v_add_f64 v[94:95], v[140:141], v[4:5]
	;; [unrolled: 1-line block ×3, first 2 shown]
	v_mul_f64 v[4:5], v[20:21], s[18:19]
	v_fma_f64 v[120:121], v[34:35], s[20:21], -v[128:129]
	v_add_f64 v[132:133], v[132:133], v[138:139]
	v_mul_f64 v[20:21], v[20:21], s[24:25]
	v_fma_f64 v[138:139], v[34:35], s[12:13], -v[10:11]
	v_fma_f64 v[128:129], v[34:35], s[20:21], v[128:129]
	v_fma_f64 v[10:11], v[34:35], s[12:13], v[10:11]
	v_add_f64 v[16:17], v[136:137], v[16:17]
	v_add_f64 v[136:137], v[152:153], v[150:151]
	v_fma_f64 v[8:9], v[78:79], s[12:13], v[12:13]
	v_fma_f64 v[12:13], v[78:79], s[12:13], -v[12:13]
	v_mul_f64 v[78:79], v[58:59], s[30:31]
	v_fma_f64 v[150:151], v[90:91], s[4:5], v[144:145]
	v_mul_f64 v[58:59], v[58:59], s[16:17]
	v_add_f64 v[6:7], v[6:7], v[48:49]
	v_add_f64 v[0:1], v[0:1], v[50:51]
	;; [unrolled: 1-line block ×3, first 2 shown]
	v_fma_f64 v[154:155], v[90:91], s[20:21], v[66:67]
	v_fma_f64 v[52:53], v[90:91], s[4:5], -v[144:145]
	v_add_f64 v[34:35], v[134:135], v[82:83]
	v_mul_f64 v[82:83], v[64:65], s[30:31]
	v_add_f64 v[14:15], v[24:25], v[14:15]
	v_fma_f64 v[134:135], v[74:75], s[4:5], -v[4:5]
	v_add_f64 v[120:121], v[26:27], v[120:121]
	v_fma_f64 v[4:5], v[74:75], s[4:5], v[4:5]
	v_fma_f64 v[152:153], v[74:75], s[20:21], -v[20:21]
	v_fma_f64 v[20:21], v[74:75], s[20:21], v[20:21]
	v_add_f64 v[50:51], v[26:27], v[128:129]
	v_add_f64 v[10:11], v[26:27], v[10:11]
	;; [unrolled: 1-line block ×3, first 2 shown]
	v_fma_f64 v[26:27], v[90:91], s[20:21], -v[66:67]
	v_add_f64 v[8:9], v[24:25], v[8:9]
	v_add_f64 v[12:13], v[24:25], v[12:13]
	v_mul_f64 v[24:25], v[56:57], s[26:27]
	v_mul_f64 v[56:57], v[56:57], s[18:19]
	;; [unrolled: 1-line block ×4, first 2 shown]
	v_add_f64 v[0:1], v[0:1], v[44:45]
	v_add_f64 v[44:45], v[150:151], v[48:49]
	;; [unrolled: 1-line block ×3, first 2 shown]
	v_fma_f64 v[46:47], v[72:73], s[6:7], v[78:79]
	v_mul_f64 v[64:65], v[64:65], s[16:17]
	v_fma_f64 v[48:49], v[86:87], s[6:7], -v[82:83]
	v_fma_f64 v[74:75], v[72:73], s[6:7], -v[78:79]
	;; [unrolled: 1-line block ×3, first 2 shown]
	v_add_f64 v[90:91], v[134:135], v[120:121]
	v_fma_f64 v[120:121], v[86:87], s[6:7], v[82:83]
	v_fma_f64 v[124:125], v[72:73], s[20:21], -v[148:149]
	v_add_f64 v[14:15], v[52:53], v[14:15]
	v_add_f64 v[4:5], v[4:5], v[50:51]
	v_fma_f64 v[50:51], v[72:73], s[0:1], v[58:59]
	v_add_f64 v[10:11], v[20:21], v[10:11]
	v_add_f64 v[134:135], v[152:153], v[138:139]
	;; [unrolled: 1-line block ×4, first 2 shown]
	v_mul_f64 v[26:27], v[54:55], s[14:15]
	v_mul_f64 v[54:55], v[54:55], s[22:23]
	;; [unrolled: 1-line block ×3, first 2 shown]
	v_fma_f64 v[82:83], v[84:85], s[4:5], v[62:63]
	v_add_f64 v[0:1], v[0:1], v[38:39]
	v_mul_f64 v[130:131], v[60:61], s[18:19]
	v_add_f64 v[6:7], v[6:7], v[40:41]
	v_mul_f64 v[52:53], v[60:61], s[14:15]
	v_fma_f64 v[138:139], v[86:87], s[0:1], v[64:65]
	v_fma_f64 v[20:21], v[86:87], s[0:1], -v[64:65]
	v_fma_f64 v[58:59], v[70:71], s[0:1], -v[24:25]
	v_mul_f64 v[60:61], v[60:61], s[22:23]
	v_add_f64 v[64:65], v[74:75], v[90:91]
	v_add_f64 v[38:39], v[120:121], v[44:45]
	v_fma_f64 v[44:45], v[70:71], s[4:5], v[56:57]
	v_fma_f64 v[74:75], v[70:71], s[4:5], -v[56:57]
	v_add_f64 v[4:5], v[46:47], v[4:5]
	v_fma_f64 v[46:47], v[84:85], s[4:5], -v[62:63]
	v_add_f64 v[10:11], v[50:51], v[10:11]
	v_add_f64 v[78:79], v[128:129], v[134:135]
	v_fma_f64 v[146:147], v[70:71], s[12:13], -v[146:147]
	v_add_f64 v[124:125], v[124:125], v[136:137]
	v_fma_f64 v[72:73], v[84:85], s[0:1], v[66:67]
	v_fma_f64 v[62:63], v[68:69], s[6:7], -v[54:55]
	v_fma_f64 v[54:55], v[68:69], s[6:7], v[54:55]
	v_fma_f64 v[136:137], v[84:85], s[12:13], v[156:157]
	;; [unrolled: 1-line block ×3, first 2 shown]
	v_fma_f64 v[40:41], v[84:85], s[0:1], -v[66:67]
	v_add_f64 v[30:31], v[6:7], v[30:31]
	v_add_f64 v[6:7], v[92:93], v[42:43]
	;; [unrolled: 1-line block ×7, first 2 shown]
	v_fma_f64 v[66:67], v[76:77], s[6:7], v[60:61]
	v_fma_f64 v[140:141], v[68:69], s[4:5], v[18:19]
	v_fma_f64 v[18:19], v[68:69], s[4:5], -v[18:19]
	v_fma_f64 v[50:51], v[68:69], s[12:13], -v[26:27]
	v_fma_f64 v[58:59], v[76:77], s[12:13], v[52:53]
	v_add_f64 v[44:45], v[44:45], v[10:11]
	v_add_f64 v[64:65], v[74:75], v[78:79]
	v_fma_f64 v[48:49], v[76:77], s[4:5], v[130:131]
	v_add_f64 v[20:21], v[146:147], v[124:125]
	v_add_f64 v[38:39], v[72:73], v[38:39]
	v_fma_f64 v[173:174], v[76:77], s[0:1], -v[98:99]
	v_fma_f64 v[98:99], v[76:77], s[0:1], v[98:99]
	v_add_f64 v[34:35], v[136:137], v[34:35]
	v_fma_f64 v[148:149], v[76:77], s[4:5], -v[130:131]
	v_fma_f64 v[72:73], v[68:69], s[12:13], v[26:27]
	v_add_f64 v[74:75], v[24:25], v[4:5]
	v_fma_f64 v[52:53], v[76:77], s[12:13], -v[52:53]
	v_add_f64 v[70:71], v[82:83], v[8:9]
	v_add_f64 v[40:41], v[40:41], v[14:15]
	v_fma_f64 v[60:61], v[76:77], s[6:7], -v[60:61]
	v_add_f64 v[46:47], v[46:47], v[12:13]
	v_add_f64 v[30:31], v[30:31], v[28:29]
	;; [unrolled: 1-line block ×8, first 2 shown]
	s_clause 0x1
	buffer_load_dword v44, off, s[40:43], 0 offset:104
	buffer_load_dword v45, off, s[40:43], 0 offset:108
	v_add_f64 v[26:27], v[62:63], v[64:65]
	v_add_f64 v[18:19], v[18:19], v[20:21]
	;; [unrolled: 1-line block ×7, first 2 shown]
	v_mov_b32_e32 v48, 0x1ce
	v_add_f64 v[34:35], v[140:141], v[102:103]
	v_add_f64 v[24:25], v[66:67], v[70:71]
	;; [unrolled: 1-line block ×6, first 2 shown]
	s_waitcnt vmcnt(1)
	v_mul_u32_u24_sdwa v44, v44, v48 dst_sel:DWORD dst_unused:UNUSED_PAD src0_sel:WORD_0 src1_sel:DWORD
	s_waitcnt vmcnt(0)
	v_add_lshl_u32 v44, v44, v45, 4
	ds_write_b128 v44, v[28:31]
	ds_write_b128 v44, v[24:27] offset:672
	ds_write_b128 v44, v[20:23] offset:1344
	;; [unrolled: 1-line block ×10, first 2 shown]
.LBB0_17:
	s_or_b32 exec_lo, exec_lo, s33
	s_waitcnt lgkmcnt(0)
	s_barrier
	buffer_gl0_inv
	ds_read_b128 v[0:3], v255 offset:7392
	ds_read_b128 v[4:7], v255 offset:14784
	;; [unrolled: 1-line block ×4, first 2 shown]
	s_mov_b32 s0, 0xe8584caa
	s_mov_b32 s1, 0xbfebb67a
	;; [unrolled: 1-line block ×4, first 2 shown]
	s_waitcnt lgkmcnt(3)
	v_mul_f64 v[16:17], v[114:115], v[2:3]
	s_waitcnt lgkmcnt(2)
	v_mul_f64 v[18:19], v[118:119], v[6:7]
	;; [unrolled: 2-line block ×3, first 2 shown]
	v_mul_f64 v[20:21], v[114:115], v[0:1]
	v_mul_f64 v[22:23], v[118:119], v[4:5]
	;; [unrolled: 1-line block ×3, first 2 shown]
	s_waitcnt lgkmcnt(0)
	v_mul_f64 v[26:27], v[110:111], v[14:15]
	v_mul_f64 v[30:31], v[110:111], v[12:13]
	v_fma_f64 v[16:17], v[112:113], v[0:1], v[16:17]
	v_fma_f64 v[18:19], v[116:117], v[4:5], v[18:19]
	;; [unrolled: 1-line block ×3, first 2 shown]
	v_fma_f64 v[20:21], v[112:113], v[2:3], -v[20:21]
	v_fma_f64 v[22:23], v[116:117], v[6:7], -v[22:23]
	ds_read_b128 v[0:3], v255
	ds_read_b128 v[4:7], v255 offset:3696
	v_fma_f64 v[12:13], v[108:109], v[12:13], v[26:27]
	v_fma_f64 v[10:11], v[104:105], v[10:11], -v[28:29]
	v_fma_f64 v[14:15], v[108:109], v[14:15], -v[30:31]
	v_add_f64 v[24:25], v[16:17], v[18:19]
	s_waitcnt lgkmcnt(1)
	v_add_f64 v[32:33], v[0:1], v[16:17]
	s_waitcnt lgkmcnt(0)
	v_add_f64 v[36:37], v[4:5], v[8:9]
	v_add_f64 v[26:27], v[20:21], v[22:23]
	v_add_f64 v[34:35], v[20:21], -v[22:23]
	v_add_f64 v[28:29], v[8:9], v[12:13]
	v_add_f64 v[20:21], v[2:3], v[20:21]
	;; [unrolled: 1-line block ×4, first 2 shown]
	v_add_f64 v[16:17], v[16:17], -v[18:19]
	v_add_f64 v[40:41], v[10:11], -v[14:15]
	;; [unrolled: 1-line block ×3, first 2 shown]
	v_fma_f64 v[24:25], v[24:25], -0.5, v[0:1]
	s_clause 0x1
	buffer_load_dword v0, off, s[40:43], 0 offset:16
	buffer_load_dword v1, off, s[40:43], 0 offset:20
	v_fma_f64 v[26:27], v[26:27], -0.5, v[2:3]
	v_fma_f64 v[28:29], v[28:29], -0.5, v[4:5]
	v_add_f64 v[2:3], v[20:21], v[22:23]
	v_fma_f64 v[30:31], v[30:31], -0.5, v[6:7]
	v_add_f64 v[4:5], v[36:37], v[12:13]
	v_add_f64 v[6:7], v[38:39], v[14:15]
	v_fma_f64 v[8:9], v[34:35], s[0:1], v[24:25]
	v_fma_f64 v[12:13], v[34:35], s[4:5], v[24:25]
	v_mad_u64_u32 v[24:25], null, s8, v164, 0
	v_fma_f64 v[10:11], v[16:17], s[4:5], v[26:27]
	v_fma_f64 v[14:15], v[16:17], s[0:1], v[26:27]
	;; [unrolled: 1-line block ×5, first 2 shown]
	s_mul_i32 s0, s9, 0x2b50
	s_mul_hi_u32 s1, s8, 0x2b50
	s_waitcnt vmcnt(1)
	v_mov_b32_e32 v46, v0
	s_waitcnt vmcnt(0)
	v_add_f64 v[0:1], v[32:33], v[18:19]
	v_fma_f64 v[18:19], v[42:43], s[4:5], v[30:31]
	ds_write_b128 v255, v[0:3]
	ds_write_b128 v255, v[4:7] offset:3696
	ds_write_b128 v255, v[8:11] offset:7392
	;; [unrolled: 1-line block ×5, first 2 shown]
	s_waitcnt lgkmcnt(0)
	s_barrier
	buffer_gl0_inv
	ds_read_b128 v[0:3], v255
	ds_read_b128 v[8:11], v255 offset:3696
	ds_read_b128 v[4:7], v255 offset:11088
	;; [unrolled: 1-line block ×5, first 2 shown]
	s_clause 0x3
	buffer_load_dword v54, off, s[40:43], 0
	buffer_load_dword v55, off, s[40:43], 0 offset:4
	buffer_load_dword v56, off, s[40:43], 0 offset:8
	;; [unrolled: 1-line block ×3, first 2 shown]
	v_mad_u64_u32 v[44:45], null, s10, v46, 0
	s_clause 0x3
	buffer_load_dword v60, off, s[40:43], 0 offset:40
	buffer_load_dword v61, off, s[40:43], 0 offset:44
	;; [unrolled: 1-line block ×4, first 2 shown]
	v_mov_b32_e32 v26, v45
	v_mad_u64_u32 v[26:27], null, s11, v46, v[26:27]
	v_mad_u64_u32 v[27:28], null, s9, v164, v[25:26]
	v_mov_b32_e32 v45, v26
	v_mov_b32_e32 v25, v27
	v_lshlrev_b64 v[26:27], 4, v[44:45]
	v_lshlrev_b64 v[24:25], 4, v[24:25]
	v_add_co_u32 v26, vcc_lo, s2, v26
	v_add_co_ci_u32_e32 v27, vcc_lo, s3, v27, vcc_lo
	s_mul_i32 s2, s8, 0x2b50
	v_add_co_u32 v24, vcc_lo, v26, v24
	v_add_co_ci_u32_e32 v25, vcc_lo, v27, v25, vcc_lo
	s_add_i32 s3, s1, s0
	v_add_co_u32 v50, vcc_lo, v24, s2
	v_add_co_ci_u32_e32 v51, vcc_lo, s3, v25, vcc_lo
	s_mul_i32 s0, s9, 0xffffe320
	s_sub_i32 s4, s0, s8
	v_mad_u64_u32 v[52:53], null, 0xffffe320, s8, v[50:51]
	s_mov_b32 s0, 0x5e918c
	s_mov_b32 s1, 0x3f47a463
	v_add_nc_u32_e32 v53, s4, v53
	s_waitcnt vmcnt(4) lgkmcnt(5)
	v_mul_f64 v[26:27], v[56:57], v[2:3]
	v_mul_f64 v[28:29], v[56:57], v[0:1]
	s_clause 0x7
	buffer_load_dword v56, off, s[40:43], 0 offset:24
	buffer_load_dword v57, off, s[40:43], 0 offset:28
	;; [unrolled: 1-line block ×8, first 2 shown]
	s_waitcnt vmcnt(8) lgkmcnt(3)
	v_mul_f64 v[30:31], v[62:63], v[6:7]
	v_mul_f64 v[32:33], v[62:63], v[4:5]
	s_clause 0x3
	buffer_load_dword v62, off, s[40:43], 0 offset:56
	buffer_load_dword v63, off, s[40:43], 0 offset:60
	;; [unrolled: 1-line block ×4, first 2 shown]
	v_fma_f64 v[0:1], v[54:55], v[0:1], v[26:27]
	v_fma_f64 v[2:3], v[54:55], v[2:3], -v[28:29]
	v_add_co_u32 v26, vcc_lo, v52, s2
	v_fma_f64 v[4:5], v[60:61], v[4:5], v[30:31]
	v_fma_f64 v[6:7], v[60:61], v[6:7], -v[32:33]
	v_add_co_ci_u32_e32 v27, vcc_lo, s3, v53, vcc_lo
	v_mad_u64_u32 v[28:29], null, 0xffffe320, s8, v[26:27]
	v_add_nc_u32_e32 v29, s4, v29
	v_add_co_u32 v30, vcc_lo, v28, s2
	v_mul_f64 v[0:1], v[0:1], s[0:1]
	v_mul_f64 v[2:3], v[2:3], s[0:1]
	v_add_co_ci_u32_e32 v31, vcc_lo, s3, v29, vcc_lo
	v_mul_f64 v[4:5], v[4:5], s[0:1]
	v_mul_f64 v[6:7], v[6:7], s[0:1]
	s_waitcnt vmcnt(8)
	v_mul_f64 v[34:35], v[58:59], v[10:11]
	s_waitcnt vmcnt(4) lgkmcnt(1)
	v_mul_f64 v[38:39], v[68:69], v[14:15]
	v_mul_f64 v[40:41], v[68:69], v[12:13]
	s_clause 0x3
	buffer_load_dword v68, off, s[40:43], 0 offset:88
	buffer_load_dword v69, off, s[40:43], 0 offset:92
	;; [unrolled: 1-line block ×4, first 2 shown]
	v_mul_f64 v[36:37], v[58:59], v[8:9]
	s_waitcnt vmcnt(4)
	v_mul_f64 v[42:43], v[64:65], v[18:19]
	v_mul_f64 v[44:45], v[64:65], v[16:17]
	v_fma_f64 v[8:9], v[56:57], v[8:9], v[34:35]
	v_fma_f64 v[12:13], v[66:67], v[12:13], v[38:39]
	v_fma_f64 v[14:15], v[66:67], v[14:15], -v[40:41]
	v_fma_f64 v[10:11], v[56:57], v[10:11], -v[36:37]
	v_fma_f64 v[16:17], v[62:63], v[16:17], v[42:43]
	v_fma_f64 v[18:19], v[62:63], v[18:19], -v[44:45]
	v_mul_f64 v[8:9], v[8:9], s[0:1]
	v_mul_f64 v[12:13], v[12:13], s[0:1]
	;; [unrolled: 1-line block ×6, first 2 shown]
	s_waitcnt vmcnt(0) lgkmcnt(0)
	v_mul_f64 v[46:47], v[70:71], v[22:23]
	v_mul_f64 v[48:49], v[70:71], v[20:21]
	v_fma_f64 v[20:21], v[68:69], v[20:21], v[46:47]
	v_fma_f64 v[22:23], v[68:69], v[22:23], -v[48:49]
	v_mul_f64 v[20:21], v[20:21], s[0:1]
	v_mul_f64 v[22:23], v[22:23], s[0:1]
	global_store_dwordx4 v[24:25], v[0:3], off
	global_store_dwordx4 v[50:51], v[4:7], off
	global_store_dwordx4 v[52:53], v[8:11], off
	global_store_dwordx4 v[26:27], v[12:15], off
	global_store_dwordx4 v[28:29], v[16:19], off
	global_store_dwordx4 v[30:31], v[20:23], off
.LBB0_18:
	s_endpgm
	.section	.rodata,"a",@progbits
	.p2align	6, 0x0
	.amdhsa_kernel bluestein_single_back_len1386_dim1_dp_op_CI_CI
		.amdhsa_group_segment_fixed_size 22176
		.amdhsa_private_segment_fixed_size 200
		.amdhsa_kernarg_size 104
		.amdhsa_user_sgpr_count 6
		.amdhsa_user_sgpr_private_segment_buffer 1
		.amdhsa_user_sgpr_dispatch_ptr 0
		.amdhsa_user_sgpr_queue_ptr 0
		.amdhsa_user_sgpr_kernarg_segment_ptr 1
		.amdhsa_user_sgpr_dispatch_id 0
		.amdhsa_user_sgpr_flat_scratch_init 0
		.amdhsa_user_sgpr_private_segment_size 0
		.amdhsa_wavefront_size32 1
		.amdhsa_uses_dynamic_stack 0
		.amdhsa_system_sgpr_private_segment_wavefront_offset 1
		.amdhsa_system_sgpr_workgroup_id_x 1
		.amdhsa_system_sgpr_workgroup_id_y 0
		.amdhsa_system_sgpr_workgroup_id_z 0
		.amdhsa_system_sgpr_workgroup_info 0
		.amdhsa_system_vgpr_workitem_id 0
		.amdhsa_next_free_vgpr 256
		.amdhsa_next_free_sgpr 44
		.amdhsa_reserve_vcc 1
		.amdhsa_reserve_flat_scratch 0
		.amdhsa_float_round_mode_32 0
		.amdhsa_float_round_mode_16_64 0
		.amdhsa_float_denorm_mode_32 3
		.amdhsa_float_denorm_mode_16_64 3
		.amdhsa_dx10_clamp 1
		.amdhsa_ieee_mode 1
		.amdhsa_fp16_overflow 0
		.amdhsa_workgroup_processor_mode 1
		.amdhsa_memory_ordered 1
		.amdhsa_forward_progress 0
		.amdhsa_shared_vgpr_count 0
		.amdhsa_exception_fp_ieee_invalid_op 0
		.amdhsa_exception_fp_denorm_src 0
		.amdhsa_exception_fp_ieee_div_zero 0
		.amdhsa_exception_fp_ieee_overflow 0
		.amdhsa_exception_fp_ieee_underflow 0
		.amdhsa_exception_fp_ieee_inexact 0
		.amdhsa_exception_int_div_zero 0
	.end_amdhsa_kernel
	.text
.Lfunc_end0:
	.size	bluestein_single_back_len1386_dim1_dp_op_CI_CI, .Lfunc_end0-bluestein_single_back_len1386_dim1_dp_op_CI_CI
                                        ; -- End function
	.section	.AMDGPU.csdata,"",@progbits
; Kernel info:
; codeLenInByte = 15116
; NumSgprs: 46
; NumVgprs: 256
; ScratchSize: 200
; MemoryBound: 0
; FloatMode: 240
; IeeeMode: 1
; LDSByteSize: 22176 bytes/workgroup (compile time only)
; SGPRBlocks: 5
; VGPRBlocks: 31
; NumSGPRsForWavesPerEU: 46
; NumVGPRsForWavesPerEU: 256
; Occupancy: 4
; WaveLimiterHint : 1
; COMPUTE_PGM_RSRC2:SCRATCH_EN: 1
; COMPUTE_PGM_RSRC2:USER_SGPR: 6
; COMPUTE_PGM_RSRC2:TRAP_HANDLER: 0
; COMPUTE_PGM_RSRC2:TGID_X_EN: 1
; COMPUTE_PGM_RSRC2:TGID_Y_EN: 0
; COMPUTE_PGM_RSRC2:TGID_Z_EN: 0
; COMPUTE_PGM_RSRC2:TIDIG_COMP_CNT: 0
	.text
	.p2alignl 6, 3214868480
	.fill 48, 4, 3214868480
	.type	__hip_cuid_5c0a55d980b8f610,@object ; @__hip_cuid_5c0a55d980b8f610
	.section	.bss,"aw",@nobits
	.globl	__hip_cuid_5c0a55d980b8f610
__hip_cuid_5c0a55d980b8f610:
	.byte	0                               ; 0x0
	.size	__hip_cuid_5c0a55d980b8f610, 1

	.ident	"AMD clang version 19.0.0git (https://github.com/RadeonOpenCompute/llvm-project roc-6.4.0 25133 c7fe45cf4b819c5991fe208aaa96edf142730f1d)"
	.section	".note.GNU-stack","",@progbits
	.addrsig
	.addrsig_sym __hip_cuid_5c0a55d980b8f610
	.amdgpu_metadata
---
amdhsa.kernels:
  - .args:
      - .actual_access:  read_only
        .address_space:  global
        .offset:         0
        .size:           8
        .value_kind:     global_buffer
      - .actual_access:  read_only
        .address_space:  global
        .offset:         8
        .size:           8
        .value_kind:     global_buffer
      - .actual_access:  read_only
        .address_space:  global
        .offset:         16
        .size:           8
        .value_kind:     global_buffer
      - .actual_access:  read_only
        .address_space:  global
        .offset:         24
        .size:           8
        .value_kind:     global_buffer
      - .actual_access:  read_only
        .address_space:  global
        .offset:         32
        .size:           8
        .value_kind:     global_buffer
      - .offset:         40
        .size:           8
        .value_kind:     by_value
      - .address_space:  global
        .offset:         48
        .size:           8
        .value_kind:     global_buffer
      - .address_space:  global
        .offset:         56
        .size:           8
        .value_kind:     global_buffer
      - .address_space:  global
        .offset:         64
        .size:           8
        .value_kind:     global_buffer
      - .address_space:  global
        .offset:         72
        .size:           8
        .value_kind:     global_buffer
      - .offset:         80
        .size:           4
        .value_kind:     by_value
      - .address_space:  global
        .offset:         88
        .size:           8
        .value_kind:     global_buffer
      - .address_space:  global
        .offset:         96
        .size:           8
        .value_kind:     global_buffer
    .group_segment_fixed_size: 22176
    .kernarg_segment_align: 8
    .kernarg_segment_size: 104
    .language:       OpenCL C
    .language_version:
      - 2
      - 0
    .max_flat_workgroup_size: 231
    .name:           bluestein_single_back_len1386_dim1_dp_op_CI_CI
    .private_segment_fixed_size: 200
    .sgpr_count:     46
    .sgpr_spill_count: 0
    .symbol:         bluestein_single_back_len1386_dim1_dp_op_CI_CI.kd
    .uniform_work_group_size: 1
    .uses_dynamic_stack: false
    .vgpr_count:     256
    .vgpr_spill_count: 49
    .wavefront_size: 32
    .workgroup_processor_mode: 1
amdhsa.target:   amdgcn-amd-amdhsa--gfx1030
amdhsa.version:
  - 1
  - 2
...

	.end_amdgpu_metadata
